;; amdgpu-corpus repo=ROCm/rocFFT kind=compiled arch=gfx1100 opt=O3
	.text
	.amdgcn_target "amdgcn-amd-amdhsa--gfx1100"
	.amdhsa_code_object_version 6
	.protected	bluestein_single_back_len1326_dim1_dp_op_CI_CI ; -- Begin function bluestein_single_back_len1326_dim1_dp_op_CI_CI
	.globl	bluestein_single_back_len1326_dim1_dp_op_CI_CI
	.p2align	8
	.type	bluestein_single_back_len1326_dim1_dp_op_CI_CI,@function
bluestein_single_back_len1326_dim1_dp_op_CI_CI: ; @bluestein_single_back_len1326_dim1_dp_op_CI_CI
; %bb.0:
	s_load_b128 s[4:7], s[0:1], 0x28
	v_mul_u32_u24_e32 v1, 0x283, v0
	v_mov_b32_e32 v4, 0
	s_mov_b32 s2, exec_lo
	s_delay_alu instid0(VALU_DEP_2) | instskip(NEXT) | instid1(VALU_DEP_1)
	v_lshrrev_b32_e32 v1, 16, v1
	v_lshl_add_u32 v3, s15, 1, v1
	s_delay_alu instid0(VALU_DEP_1)
	v_mov_b32_e32 v2, v3
	scratch_store_b64 off, v[2:3], off offset:4 ; 8-byte Folded Spill
	s_waitcnt lgkmcnt(0)
	v_cmpx_gt_u64_e64 s[4:5], v[3:4]
	s_cbranch_execz .LBB0_23
; %bb.1:
	v_mul_lo_u16 v2, 0x66, v1
	s_clause 0x1
	s_load_b64 s[12:13], s[0:1], 0x0
	s_load_b64 s[14:15], s[0:1], 0x38
	v_and_b32_e32 v1, 1, v1
	v_sub_nc_u16 v0, v0, v2
	s_delay_alu instid0(VALU_DEP_2) | instskip(NEXT) | instid1(VALU_DEP_2)
	v_cmp_eq_u32_e32 vcc_lo, 1, v1
	v_and_b32_e32 v2, 0xffff, v0
	v_cndmask_b32_e64 v212, 0, 0x52e, vcc_lo
	v_cmp_gt_u16_e32 vcc_lo, 0x4e, v0
	s_delay_alu instid0(VALU_DEP_2)
	v_lshlrev_b32_e32 v0, 4, v212
	s_clause 0x1
	scratch_store_b32 off, v2, off
	scratch_store_b32 off, v0, off offset:12
	s_and_saveexec_b32 s3, vcc_lo
	s_cbranch_execz .LBB0_3
; %bb.2:
	scratch_load_b32 v173, off, off         ; 4-byte Folded Reload
	s_load_b64 s[4:5], s[0:1], 0x18
	s_waitcnt lgkmcnt(0)
	s_load_b128 s[8:11], s[4:5], 0x0
	s_waitcnt lgkmcnt(0)
	s_mul_i32 s4, s9, 0x4e0
	s_mul_hi_u32 s5, s8, 0x4e0
	s_delay_alu instid0(SALU_CYCLE_1)
	s_add_i32 s5, s5, s4
	s_waitcnt vmcnt(0)
	v_mad_u64_u32 v[40:41], null, s8, v173, 0
	v_lshlrev_b32_e32 v172, 4, v173
	s_clause 0x3
	global_load_b128 v[0:3], v172, s[12:13]
	global_load_b128 v[4:7], v172, s[12:13] offset:1248
	global_load_b128 v[8:11], v172, s[12:13] offset:2496
	;; [unrolled: 1-line block ×3, first 2 shown]
	scratch_load_b64 v[16:17], off, off offset:4 ; 8-byte Folded Reload
	s_waitcnt vmcnt(0)
	v_mov_b32_e32 v17, v41
	v_add_co_u32 v18, s2, s12, v172
	s_delay_alu instid0(VALU_DEP_1) | instskip(NEXT) | instid1(VALU_DEP_2)
	v_add_co_ci_u32_e64 v19, null, s13, 0, s2
	v_add_co_u32 v24, s2, 0x1000, v18
	s_delay_alu instid0(VALU_DEP_1) | instskip(SKIP_4) | instid1(VALU_DEP_1)
	v_add_co_ci_u32_e64 v25, s2, 0, v19, s2
	v_add_co_u32 v38, s2, 0x2000, v18
	v_mad_u64_u32 v[41:42], null, s9, v173, v[17:18]
	v_add_co_ci_u32_e64 v39, s2, 0, v19, s2
	v_add_co_u32 v52, s2, 0x3000, v18
	v_add_co_ci_u32_e64 v53, s2, 0, v19, s2
	v_add_co_u32 v128, s2, 0x4000, v18
	s_delay_alu instid0(VALU_DEP_1) | instskip(SKIP_2) | instid1(VALU_DEP_1)
	v_add_co_ci_u32_e64 v129, s2, 0, v19, s2
	v_lshlrev_b64 v[40:41], 4, v[40:41]
	v_mov_b32_e32 v20, v16
	v_mad_u64_u32 v[36:37], null, s10, v20, 0
	s_delay_alu instid0(VALU_DEP_1) | instskip(NEXT) | instid1(VALU_DEP_1)
	v_mov_b32_e32 v16, v37
	v_mad_u64_u32 v[26:27], null, s11, v20, v[16:17]
	s_clause 0x1
	global_load_b128 v[16:19], v[24:25], off offset:896
	global_load_b128 v[20:23], v[24:25], off offset:2144
	v_mov_b32_e32 v37, v26
	s_clause 0x2
	global_load_b128 v[24:27], v[24:25], off offset:3392
	global_load_b128 v[28:31], v[38:39], off offset:544
	;; [unrolled: 1-line block ×3, first 2 shown]
	v_lshlrev_b64 v[42:43], 4, v[36:37]
	global_load_b128 v[36:39], v[38:39], off offset:3040
	v_add_co_u32 v42, s2, s6, v42
	s_delay_alu instid0(VALU_DEP_1) | instskip(SKIP_1) | instid1(VALU_DEP_2)
	v_add_co_ci_u32_e64 v43, s2, s7, v43, s2
	s_mul_i32 s6, s8, 0x4e0
	v_add_co_u32 v56, s2, v42, v40
	s_delay_alu instid0(VALU_DEP_1) | instskip(SKIP_4) | instid1(VALU_DEP_1)
	v_add_co_ci_u32_e64 v57, s2, v43, v41, s2
	s_clause 0x1
	global_load_b128 v[40:43], v[52:53], off offset:192
	global_load_b128 v[44:47], v[52:53], off offset:1440
	v_add_co_u32 v60, s2, v56, s6
	v_add_co_ci_u32_e64 v61, s2, s5, v57, s2
	s_clause 0x1
	global_load_b128 v[48:51], v[52:53], off offset:2688
	global_load_b128 v[52:55], v[52:53], off offset:3936
	v_add_co_u32 v64, s2, v60, s6
	s_delay_alu instid0(VALU_DEP_1) | instskip(SKIP_4) | instid1(VALU_DEP_1)
	v_add_co_ci_u32_e64 v65, s2, s5, v61, s2
	s_clause 0x1
	global_load_b128 v[56:59], v[56:57], off
	global_load_b128 v[60:63], v[60:61], off
	v_add_co_u32 v68, s2, v64, s6
	v_add_co_ci_u32_e64 v69, s2, s5, v65, s2
	s_delay_alu instid0(VALU_DEP_2) | instskip(NEXT) | instid1(VALU_DEP_1)
	v_add_co_u32 v72, s2, v68, s6
	v_add_co_ci_u32_e64 v73, s2, s5, v69, s2
	s_clause 0x1
	global_load_b128 v[64:67], v[64:65], off
	global_load_b128 v[68:71], v[68:69], off
	v_add_co_u32 v76, s2, v72, s6
	s_delay_alu instid0(VALU_DEP_1) | instskip(SKIP_2) | instid1(VALU_DEP_1)
	v_add_co_ci_u32_e64 v77, s2, s5, v73, s2
	global_load_b128 v[72:75], v[72:73], off
	v_add_co_u32 v80, s2, v76, s6
	v_add_co_ci_u32_e64 v81, s2, s5, v77, s2
	global_load_b128 v[76:79], v[76:77], off
	v_add_co_u32 v84, s2, v80, s6
	s_delay_alu instid0(VALU_DEP_1) | instskip(SKIP_2) | instid1(VALU_DEP_1)
	v_add_co_ci_u32_e64 v85, s2, s5, v81, s2
	global_load_b128 v[80:83], v[80:81], off
	v_add_co_u32 v88, s2, v84, s6
	v_add_co_ci_u32_e64 v89, s2, s5, v85, s2
	;; [unrolled: 7-line block ×6, first 2 shown]
	s_clause 0x1
	global_load_b128 v[116:119], v[128:129], off offset:1088
	global_load_b128 v[120:123], v[128:129], off offset:2336
	global_load_b128 v[124:127], v[124:125], off
	global_load_b128 v[128:131], v[128:129], off offset:3584
	global_load_b128 v[132:135], v[132:133], off
	s_waitcnt vmcnt(19)
	v_mul_f64 v[136:137], v[58:59], v[2:3]
	v_mul_f64 v[2:3], v[56:57], v[2:3]
	s_waitcnt vmcnt(18)
	v_mul_f64 v[138:139], v[62:63], v[6:7]
	v_mul_f64 v[6:7], v[60:61], v[6:7]
	;; [unrolled: 3-line block ×14, first 2 shown]
	v_fma_f64 v[54:55], v[56:57], v[0:1], v[136:137]
	v_fma_f64 v[56:57], v[58:59], v[0:1], -v[2:3]
	v_fma_f64 v[0:1], v[60:61], v[4:5], v[138:139]
	v_fma_f64 v[2:3], v[62:63], v[4:5], -v[6:7]
	s_waitcnt vmcnt(4)
	v_mul_f64 v[166:167], v[114:115], v[118:119]
	v_mul_f64 v[118:119], v[112:113], v[118:119]
	s_waitcnt vmcnt(2)
	v_mul_f64 v[168:169], v[126:127], v[122:123]
	v_mul_f64 v[122:123], v[124:125], v[122:123]
	;; [unrolled: 3-line block ×3, first 2 shown]
	v_fma_f64 v[4:5], v[64:65], v[8:9], v[140:141]
	v_fma_f64 v[6:7], v[66:67], v[8:9], -v[10:11]
	v_fma_f64 v[8:9], v[68:69], v[12:13], v[142:143]
	v_fma_f64 v[10:11], v[70:71], v[12:13], -v[14:15]
	;; [unrolled: 2-line block ×12, first 2 shown]
	v_lshlrev_b32_e32 v53, 4, v212
	v_fma_f64 v[58:59], v[112:113], v[116:117], v[166:167]
	v_fma_f64 v[60:61], v[114:115], v[116:117], -v[118:119]
	v_fma_f64 v[62:63], v[124:125], v[120:121], v[168:169]
	v_fma_f64 v[64:65], v[126:127], v[120:121], -v[122:123]
	;; [unrolled: 2-line block ×3, first 2 shown]
	v_lshl_add_u32 v52, v173, 4, v53
	v_add_nc_u32_e32 v53, v53, v172
	ds_store_b128 v52, v[54:57]
	ds_store_b128 v53, v[0:3] offset:1248
	ds_store_b128 v53, v[4:7] offset:2496
	;; [unrolled: 1-line block ×16, first 2 shown]
.LBB0_3:
	s_or_b32 exec_lo, exec_lo, s3
	s_waitcnt lgkmcnt(0)
	s_waitcnt_vscnt null, 0x0
	s_barrier
	buffer_gl0_inv
                                        ; implicit-def: $vgpr0_vgpr1
                                        ; implicit-def: $vgpr16_vgpr17
                                        ; implicit-def: $vgpr20_vgpr21
                                        ; implicit-def: $vgpr24_vgpr25
                                        ; implicit-def: $vgpr28_vgpr29
                                        ; implicit-def: $vgpr32_vgpr33
                                        ; implicit-def: $vgpr36_vgpr37
                                        ; implicit-def: $vgpr40_vgpr41
                                        ; implicit-def: $vgpr48_vgpr49
                                        ; implicit-def: $vgpr56_vgpr57
                                        ; implicit-def: $vgpr60_vgpr61
                                        ; implicit-def: $vgpr80_vgpr81
                                        ; implicit-def: $vgpr84_vgpr85
                                        ; implicit-def: $vgpr44_vgpr45
                                        ; implicit-def: $vgpr12_vgpr13
                                        ; implicit-def: $vgpr8_vgpr9
                                        ; implicit-def: $vgpr4_vgpr5
	s_and_saveexec_b32 s2, vcc_lo
	s_cbranch_execz .LBB0_5
; %bb.4:
	scratch_load_b32 v0, off, off           ; 4-byte Folded Reload
	s_waitcnt vmcnt(0)
	v_lshlrev_b32_e32 v0, 4, v0
	s_delay_alu instid0(VALU_DEP_1)
	v_lshl_add_u32 v4, v212, 4, v0
	ds_load_b128 v[0:3], v4
	ds_load_b128 v[16:19], v4 offset:1248
	ds_load_b128 v[20:23], v4 offset:2496
	ds_load_b128 v[24:27], v4 offset:3744
	ds_load_b128 v[28:31], v4 offset:4992
	ds_load_b128 v[32:35], v4 offset:6240
	ds_load_b128 v[36:39], v4 offset:7488
	ds_load_b128 v[40:43], v4 offset:8736
	ds_load_b128 v[48:51], v4 offset:9984
	ds_load_b128 v[56:59], v4 offset:11232
	ds_load_b128 v[60:63], v4 offset:12480
	ds_load_b128 v[80:83], v4 offset:13728
	ds_load_b128 v[84:87], v4 offset:14976
	ds_load_b128 v[44:47], v4 offset:16224
	ds_load_b128 v[12:15], v4 offset:17472
	ds_load_b128 v[8:11], v4 offset:18720
	ds_load_b128 v[4:7], v4 offset:19968
.LBB0_5:
	s_or_b32 exec_lo, exec_lo, s2
	s_waitcnt lgkmcnt(0)
	v_add_f64 v[168:169], v[18:19], -v[6:7]
	v_add_f64 v[102:103], v[22:23], -v[10:11]
	s_mov_b32 s6, 0x5d8e7cdc
	s_mov_b32 s16, 0x2a9d6da3
	;; [unrolled: 1-line block ×4, first 2 shown]
	v_add_f64 v[164:165], v[16:17], v[4:5]
	v_add_f64 v[100:101], v[20:21], -v[8:9]
	s_mov_b32 s8, 0x370991
	s_mov_b32 s9, 0x3fedd6d0
	v_add_f64 v[88:89], v[20:21], v[8:9]
	s_mov_b32 s10, 0x75d4884
	s_mov_b32 s11, 0x3fe7a5f6
	v_add_f64 v[182:183], v[16:17], -v[4:5]
	v_add_f64 v[178:179], v[18:19], v[6:7]
	v_add_f64 v[96:97], v[22:23], v[10:11]
	v_add_f64 v[114:115], v[26:27], -v[14:15]
	s_mov_b32 s20, 0x7c9e640b
	s_mov_b32 s21, 0xbfeca52d
	v_add_f64 v[92:93], v[24:25], v[12:13]
	s_mov_b32 s18, 0x2b2883cd
	s_mov_b32 s24, 0xeb564b22
	;; [unrolled: 1-line block ×4, first 2 shown]
	v_add_f64 v[112:113], v[24:25], -v[12:13]
	v_add_f64 v[108:109], v[26:27], v[14:15]
	v_add_f64 v[124:125], v[30:31], -v[46:47]
	v_add_f64 v[104:105], v[28:29], v[44:45]
	s_mov_b32 s22, 0x3259b75e
	s_mov_b32 s23, 0x3fb79ee6
	v_add_f64 v[126:127], v[28:29], -v[44:45]
	v_add_f64 v[120:121], v[30:31], v[46:47]
	v_add_f64 v[136:137], v[34:35], -v[86:87]
	s_mov_b32 s28, 0x923c349f
	s_mov_b32 s29, 0xbfeec746
	v_add_f64 v[116:117], v[32:33], v[84:85]
	s_mov_b32 s26, 0xc61f0d01
	s_mov_b32 s27, 0xbfd183b1
	v_mul_f64 v[52:53], v[168:169], s[6:7]
	v_mul_f64 v[54:55], v[102:103], s[16:17]
	;; [unrolled: 1-line block ×3, first 2 shown]
	v_add_f64 v[142:143], v[32:33], -v[84:85]
	v_add_f64 v[132:133], v[34:35], v[86:87]
	v_add_f64 v[162:163], v[38:39], -v[82:83]
	s_mov_b32 s54, 0x6c9a05f6
	v_mul_f64 v[64:65], v[100:101], s[16:17]
	v_mul_f64 v[68:69], v[100:101], s[24:25]
	s_mov_b32 s55, 0xbfe9895b
	v_add_f64 v[128:129], v[36:37], v[80:81]
	s_mov_b32 s30, 0x6ed5f1bb
	s_mov_b32 s31, 0xbfe348c8
	v_add_f64 v[156:157], v[36:37], -v[80:81]
	v_add_f64 v[144:145], v[38:39], v[82:83]
	v_add_f64 v[172:173], v[42:43], -v[62:63]
	s_mov_b32 s38, 0x4363dd80
	s_mov_b32 s39, 0x3fe0d888
	;; [unrolled: 1-line block ×4, first 2 shown]
	v_add_f64 v[138:139], v[40:41], v[60:61]
	s_mov_b32 s34, 0x910ea3b9
	s_mov_b32 s35, 0xbfeb34fa
	v_add_f64 v[170:171], v[40:41], -v[60:61]
	v_add_f64 v[152:153], v[42:43], v[62:63]
	v_add_f64 v[176:177], v[50:51], -v[58:59]
	s_mov_b32 s40, 0xacd6c6b4
	s_mov_b32 s41, 0xbfc7851a
	v_add_f64 v[148:149], v[48:49], v[56:57]
	s_mov_b32 s36, 0x7faef3
	s_mov_b32 s37, 0xbfef7484
	v_add_f64 v[174:175], v[48:49], -v[56:57]
	v_add_f64 v[158:159], v[50:51], v[58:59]
	v_mul_f64 v[194:195], v[168:169], s[16:17]
	v_mul_f64 v[196:197], v[182:183], s[16:17]
	s_mov_b32 s53, 0x3feec746
	s_mov_b32 s52, s28
	;; [unrolled: 1-line block ×4, first 2 shown]
	s_clause 0x1
	scratch_store_b64 off, v[54:55], off offset:16
	scratch_store_b64 off, v[52:53], off offset:240
	v_fma_f64 v[52:53], v[164:165], s[8:9], v[52:53]
	v_fma_f64 v[54:55], v[88:89], s[10:11], v[54:55]
	s_mov_b32 s45, 0x3fd71e95
	s_mov_b32 s44, s6
	scratch_store_b64 off, v[64:65], off offset:48 ; 8-byte Folded Spill
	v_fma_f64 v[64:65], v[96:97], s[10:11], -v[64:65]
	v_mul_f64 v[198:199], v[168:169], s[20:21]
	v_mul_f64 v[200:201], v[182:183], s[20:21]
	;; [unrolled: 1-line block ×3, first 2 shown]
	s_mov_b32 s49, 0x3fc7851a
	v_mul_f64 v[221:222], v[156:157], s[52:53]
	s_mov_b32 s48, s40
	v_mul_f64 v[239:240], v[126:127], s[52:53]
	v_mul_f64 v[223:224], v[112:113], s[48:49]
	s_mov_b32 s51, 0x3fe58eea
	s_mov_b32 s50, s16
	v_mul_f64 v[94:95], v[162:163], s[6:7]
	v_mul_f64 v[235:236], v[136:137], s[50:51]
	;; [unrolled: 1-line block ×22, first 2 shown]
	v_add_f64 v[52:53], v[0:1], v[52:53]
	s_mov_b32 s57, 0x3fe9895b
	s_mov_b32 s56, s54
	v_mul_f64 v[249:250], v[176:177], s[50:51]
	v_mul_f64 v[90:91], v[172:173], s[56:57]
	;; [unrolled: 1-line block ×14, first 2 shown]
	s_mov_b32 s59, 0x3fefdd0d
	s_mov_b32 s58, s24
	v_mul_f64 v[140:141], v[172:173], s[6:7]
	v_mul_f64 v[186:187], v[162:163], s[58:59]
	;; [unrolled: 1-line block ×4, first 2 shown]
	scratch_store_b64 off, v[66:67], off offset:264 ; 8-byte Folded Spill
	v_fma_f64 v[66:67], v[88:89], s[22:23], v[66:67]
	v_fma_f64 v[70:71], v[88:89], s[36:37], v[217:218]
	scratch_store_b64 off, v[68:69], off offset:304 ; 8-byte Folded Spill
	v_fma_f64 v[68:69], v[96:97], s[22:23], -v[68:69]
	v_fma_f64 v[72:73], v[96:97], s[36:37], -v[233:234]
	v_add_f64 v[52:53], v[54:55], v[52:53]
	v_mul_f64 v[54:55], v[182:183], s[6:7]
	v_fma_f64 v[130:131], v[96:97], s[34:35], -v[253:254]
	scratch_store_b64 off, v[54:55], off offset:256 ; 8-byte Folded Spill
	v_fma_f64 v[54:55], v[178:179], s[8:9], -v[54:55]
	s_delay_alu instid0(VALU_DEP_1) | instskip(NEXT) | instid1(VALU_DEP_1)
	v_add_f64 v[54:55], v[2:3], v[54:55]
	v_add_f64 v[54:55], v[64:65], v[54:55]
	v_mul_f64 v[64:65], v[114:115], s[20:21]
	scratch_store_b64 off, v[64:65], off offset:32 ; 8-byte Folded Spill
	v_fma_f64 v[64:65], v[92:93], s[18:19], v[64:65]
	s_delay_alu instid0(VALU_DEP_1) | instskip(SKIP_3) | instid1(VALU_DEP_1)
	v_add_f64 v[52:53], v[64:65], v[52:53]
	v_mul_f64 v[64:65], v[112:113], s[20:21]
	scratch_store_b64 off, v[64:65], off offset:80 ; 8-byte Folded Spill
	v_fma_f64 v[64:65], v[108:109], s[18:19], -v[64:65]
	v_add_f64 v[54:55], v[64:65], v[54:55]
	v_mul_f64 v[64:65], v[124:125], s[24:25]
	scratch_store_b64 off, v[64:65], off offset:64 ; 8-byte Folded Spill
	v_fma_f64 v[64:65], v[104:105], s[22:23], v[64:65]
	s_delay_alu instid0(VALU_DEP_1) | instskip(SKIP_3) | instid1(VALU_DEP_1)
	v_add_f64 v[52:53], v[64:65], v[52:53]
	v_mul_f64 v[64:65], v[126:127], s[24:25]
	scratch_store_b64 off, v[64:65], off offset:112 ; 8-byte Folded Spill
	v_fma_f64 v[64:65], v[120:121], s[22:23], -v[64:65]
	;; [unrolled: 9-line block ×6, first 2 shown]
	v_add_f64 v[54:55], v[64:65], v[54:55]
	v_fma_f64 v[64:65], v[164:165], s[10:11], v[194:195]
	s_delay_alu instid0(VALU_DEP_1) | instskip(NEXT) | instid1(VALU_DEP_1)
	v_add_f64 v[64:65], v[0:1], v[64:65]
	v_add_f64 v[64:65], v[66:67], v[64:65]
	v_fma_f64 v[66:67], v[178:179], s[10:11], -v[196:197]
	s_delay_alu instid0(VALU_DEP_1) | instskip(NEXT) | instid1(VALU_DEP_1)
	v_add_f64 v[66:67], v[2:3], v[66:67]
	v_add_f64 v[66:67], v[68:69], v[66:67]
	v_mul_f64 v[68:69], v[114:115], s[54:55]
	scratch_store_b64 off, v[68:69], off offset:280 ; 8-byte Folded Spill
	v_fma_f64 v[68:69], v[92:93], s[30:31], v[68:69]
	s_delay_alu instid0(VALU_DEP_1) | instskip(SKIP_3) | instid1(VALU_DEP_1)
	v_add_f64 v[64:65], v[68:69], v[64:65]
	v_mul_f64 v[68:69], v[112:113], s[54:55]
	scratch_store_b64 off, v[68:69], off offset:312 ; 8-byte Folded Spill
	v_fma_f64 v[68:69], v[108:109], s[30:31], -v[68:69]
	v_add_f64 v[66:67], v[68:69], v[66:67]
	v_mul_f64 v[68:69], v[124:125], s[40:41]
	scratch_store_b64 off, v[68:69], off offset:296 ; 8-byte Folded Spill
	v_fma_f64 v[68:69], v[104:105], s[36:37], v[68:69]
	s_delay_alu instid0(VALU_DEP_1) | instskip(SKIP_3) | instid1(VALU_DEP_1)
	v_add_f64 v[64:65], v[68:69], v[64:65]
	v_mul_f64 v[68:69], v[126:127], s[40:41]
	scratch_store_b64 off, v[68:69], off offset:360 ; 8-byte Folded Spill
	v_fma_f64 v[68:69], v[120:121], s[36:37], -v[68:69]
	;; [unrolled: 9-line block ×3, first 2 shown]
	v_add_f64 v[66:67], v[68:69], v[66:67]
	v_mul_f64 v[68:69], v[162:163], s[52:53]
	scratch_store_b64 off, v[68:69], off offset:376 ; 8-byte Folded Spill
	v_fma_f64 v[68:69], v[128:129], s[26:27], v[68:69]
	s_delay_alu instid0(VALU_DEP_1) | instskip(SKIP_1) | instid1(VALU_DEP_1)
	v_add_f64 v[64:65], v[68:69], v[64:65]
	v_fma_f64 v[68:69], v[144:145], s[26:27], -v[221:222]
	v_add_f64 v[66:67], v[68:69], v[66:67]
	v_mul_f64 v[68:69], v[172:173], s[46:47]
	scratch_store_b64 off, v[68:69], off offset:344 ; 8-byte Folded Spill
	v_fma_f64 v[68:69], v[138:139], s[18:19], v[68:69]
	s_delay_alu instid0(VALU_DEP_1) | instskip(SKIP_1) | instid1(VALU_DEP_1)
	v_add_f64 v[64:65], v[68:69], v[64:65]
	v_fma_f64 v[68:69], v[152:153], s[18:19], -v[213:214]
	v_add_f64 v[66:67], v[68:69], v[66:67]
	v_mul_f64 v[68:69], v[176:177], s[44:45]
	scratch_store_b64 off, v[68:69], off offset:368 ; 8-byte Folded Spill
	v_fma_f64 v[68:69], v[148:149], s[8:9], v[68:69]
	s_delay_alu instid0(VALU_DEP_1) | instskip(SKIP_2) | instid1(VALU_DEP_2)
	v_add_f64 v[76:77], v[68:69], v[64:65]
	v_fma_f64 v[64:65], v[158:159], s[8:9], -v[219:220]
	v_fma_f64 v[68:69], v[96:97], s[30:31], -v[215:216]
	v_add_f64 v[78:79], v[64:65], v[66:67]
	v_fma_f64 v[64:65], v[164:165], s[18:19], v[198:199]
	v_mul_f64 v[66:67], v[102:103], s[54:55]
	s_delay_alu instid0(VALU_DEP_2) | instskip(SKIP_2) | instid1(VALU_DEP_1)
	v_add_f64 v[64:65], v[0:1], v[64:65]
	scratch_store_b64 off, v[66:67], off offset:352 ; 8-byte Folded Spill
	v_fma_f64 v[66:67], v[88:89], s[30:31], v[66:67]
	v_add_f64 v[64:65], v[66:67], v[64:65]
	v_fma_f64 v[66:67], v[178:179], s[18:19], -v[200:201]
	s_delay_alu instid0(VALU_DEP_1) | instskip(NEXT) | instid1(VALU_DEP_1)
	v_add_f64 v[66:67], v[2:3], v[66:67]
	v_add_f64 v[66:67], v[68:69], v[66:67]
	v_mul_f64 v[68:69], v[114:115], s[48:49]
	scratch_store_b64 off, v[68:69], off offset:384 ; 8-byte Folded Spill
	v_fma_f64 v[68:69], v[92:93], s[36:37], v[68:69]
	s_delay_alu instid0(VALU_DEP_1) | instskip(SKIP_1) | instid1(VALU_DEP_1)
	v_add_f64 v[64:65], v[68:69], v[64:65]
	v_fma_f64 v[68:69], v[108:109], s[36:37], -v[223:224]
	v_add_f64 v[66:67], v[68:69], v[66:67]
	v_mul_f64 v[68:69], v[124:125], s[52:53]
	scratch_store_b64 off, v[68:69], off offset:392 ; 8-byte Folded Spill
	v_fma_f64 v[68:69], v[104:105], s[26:27], v[68:69]
	s_clause 0x1
	s_load_b64 s[4:5], s[0:1], 0x20
	s_load_b64 s[2:3], s[0:1], 0x8
	s_waitcnt lgkmcnt(0)
	s_waitcnt_vscnt null, 0x0
	s_barrier
	buffer_gl0_inv
	v_add_f64 v[64:65], v[68:69], v[64:65]
	v_fma_f64 v[68:69], v[120:121], s[26:27], -v[239:240]
	s_delay_alu instid0(VALU_DEP_1) | instskip(SKIP_1) | instid1(VALU_DEP_1)
	v_add_f64 v[66:67], v[68:69], v[66:67]
	v_fma_f64 v[68:69], v[116:117], s[10:11], v[235:236]
	v_add_f64 v[64:65], v[68:69], v[64:65]
	v_fma_f64 v[68:69], v[132:133], s[10:11], -v[106:107]
	s_delay_alu instid0(VALU_DEP_1) | instskip(SKIP_1) | instid1(VALU_DEP_1)
	v_add_f64 v[66:67], v[68:69], v[66:67]
	v_fma_f64 v[68:69], v[128:129], s[8:9], v[94:95]
	;; [unrolled: 5-line block ×5, first 2 shown]
	v_add_f64 v[68:69], v[0:1], v[68:69]
	s_delay_alu instid0(VALU_DEP_1) | instskip(SKIP_1) | instid1(VALU_DEP_1)
	v_add_f64 v[68:69], v[70:71], v[68:69]
	v_fma_f64 v[70:71], v[178:179], s[22:23], -v[204:205]
	v_add_f64 v[70:71], v[2:3], v[70:71]
	s_delay_alu instid0(VALU_DEP_1) | instskip(SKIP_1) | instid1(VALU_DEP_1)
	v_add_f64 v[70:71], v[72:73], v[70:71]
	v_fma_f64 v[72:73], v[92:93], s[26:27], v[225:226]
	v_add_f64 v[68:69], v[72:73], v[68:69]
	v_fma_f64 v[72:73], v[108:109], s[26:27], -v[251:252]
	s_delay_alu instid0(VALU_DEP_1) | instskip(SKIP_1) | instid1(VALU_DEP_1)
	v_add_f64 v[70:71], v[72:73], v[70:71]
	v_fma_f64 v[72:73], v[104:105], s[8:9], v[229:230]
	v_add_f64 v[68:69], v[72:73], v[68:69]
	v_fma_f64 v[72:73], v[120:121], s[8:9], -v[118:119]
	;; [unrolled: 5-line block ×6, first 2 shown]
	s_delay_alu instid0(VALU_DEP_1) | instskip(SKIP_2) | instid1(VALU_DEP_2)
	v_add_f64 v[74:75], v[68:69], v[70:71]
	v_fma_f64 v[68:69], v[164:165], s[26:27], v[206:207]
	v_fma_f64 v[70:71], v[88:89], s[34:35], v[227:228]
	v_add_f64 v[68:69], v[0:1], v[68:69]
	s_delay_alu instid0(VALU_DEP_1) | instskip(SKIP_1) | instid1(VALU_DEP_1)
	v_add_f64 v[68:69], v[70:71], v[68:69]
	v_fma_f64 v[70:71], v[178:179], s[26:27], -v[208:209]
	v_add_f64 v[70:71], v[2:3], v[70:71]
	s_delay_alu instid0(VALU_DEP_1) | instskip(SKIP_1) | instid1(VALU_DEP_1)
	v_add_f64 v[70:71], v[130:131], v[70:71]
	v_fma_f64 v[130:131], v[92:93], s[10:11], v[241:242]
	v_add_f64 v[68:69], v[130:131], v[68:69]
	v_fma_f64 v[130:131], v[108:109], s[10:11], -v[134:135]
	s_delay_alu instid0(VALU_DEP_1) | instskip(SKIP_1) | instid1(VALU_DEP_1)
	v_add_f64 v[70:71], v[130:131], v[70:71]
	v_fma_f64 v[130:131], v[104:105], s[18:19], v[243:244]
	v_add_f64 v[68:69], v[130:131], v[68:69]
	v_fma_f64 v[130:131], v[120:121], s[18:19], -v[180:181]
	;; [unrolled: 5-line block ×5, first 2 shown]
	s_delay_alu instid0(VALU_DEP_1) | instskip(SKIP_1) | instid1(VALU_DEP_1)
	v_add_f64 v[70:71], v[130:131], v[70:71]
	v_mul_f64 v[130:131], v[176:177], s[54:55]
	v_fma_f64 v[166:167], v[148:149], s[30:31], v[130:131]
	s_delay_alu instid0(VALU_DEP_1) | instskip(SKIP_1) | instid1(VALU_DEP_1)
	v_add_f64 v[68:69], v[166:167], v[68:69]
	v_mul_f64 v[166:167], v[174:175], s[54:55]
	v_fma_f64 v[210:211], v[158:159], s[30:31], -v[166:167]
	s_delay_alu instid0(VALU_DEP_1)
	v_add_f64 v[70:71], v[210:211], v[70:71]
	s_and_saveexec_b32 s0, vcc_lo
	s_cbranch_execz .LBB0_7
; %bb.6:
	v_add_f64 v[16:17], v[0:1], v[16:17]
	v_add_f64 v[18:19], v[2:3], v[18:19]
	scratch_load_b64 v[210:211], off, off offset:264 ; 8-byte Folded Reload
	v_add_f64 v[16:17], v[16:17], v[20:21]
	v_add_f64 v[18:19], v[18:19], v[22:23]
	v_mul_f64 v[20:21], v[178:179], s[26:27]
	v_mul_f64 v[22:23], v[164:165], s[26:27]
	s_delay_alu instid0(VALU_DEP_4) | instskip(NEXT) | instid1(VALU_DEP_4)
	v_add_f64 v[16:17], v[16:17], v[24:25]
	v_add_f64 v[18:19], v[18:19], v[26:27]
	v_mul_f64 v[24:25], v[178:179], s[22:23]
	v_mul_f64 v[26:27], v[164:165], s[22:23]
	v_add_f64 v[20:21], v[208:209], v[20:21]
	v_add_f64 v[22:23], v[22:23], -v[206:207]
	s_clause 0x1
	scratch_load_b64 v[206:207], off, off offset:376
	scratch_load_b64 v[208:209], off, off offset:328
	v_add_f64 v[16:17], v[16:17], v[28:29]
	v_add_f64 v[18:19], v[18:19], v[30:31]
	;; [unrolled: 1-line block ×3, first 2 shown]
	scratch_load_b64 v[204:205], off, off offset:304 ; 8-byte Folded Reload
	v_mul_f64 v[28:29], v[178:179], s[18:19]
	v_mul_f64 v[30:31], v[164:165], s[18:19]
	v_add_f64 v[26:27], v[26:27], -v[202:203]
	scratch_load_b64 v[202:203], off, off offset:312 ; 8-byte Folded Reload
	v_add_f64 v[16:17], v[16:17], v[32:33]
	v_add_f64 v[18:19], v[18:19], v[34:35]
	v_mul_f64 v[34:35], v[164:165], s[10:11]
	v_mul_f64 v[32:33], v[178:179], s[10:11]
	v_add_f64 v[28:29], v[200:201], v[28:29]
	v_add_f64 v[30:31], v[30:31], -v[198:199]
	v_add_f64 v[26:27], v[0:1], v[26:27]
	v_add_f64 v[24:25], v[2:3], v[24:25]
	v_mul_f64 v[198:199], v[158:159], s[26:27]
	v_mul_f64 v[200:201], v[176:177], s[28:29]
	v_add_f64 v[16:17], v[16:17], v[36:37]
	v_add_f64 v[18:19], v[18:19], v[38:39]
	scratch_load_b64 v[38:39], off, off offset:256 ; 8-byte Folded Reload
	v_mul_f64 v[36:37], v[178:179], s[8:9]
	v_add_f64 v[34:35], v[34:35], -v[194:195]
	v_add_f64 v[32:33], v[196:197], v[32:33]
	v_mul_f64 v[194:195], v[176:177], s[58:59]
	v_mul_f64 v[196:197], v[172:173], s[50:51]
	v_add_f64 v[16:17], v[16:17], v[40:41]
	v_add_f64 v[18:19], v[18:19], v[42:43]
	v_mul_f64 v[40:41], v[168:169], s[42:43]
	v_mul_f64 v[42:43], v[168:169], s[54:55]
	s_delay_alu instid0(VALU_DEP_4) | instskip(NEXT) | instid1(VALU_DEP_4)
	v_add_f64 v[16:17], v[16:17], v[48:49]
	v_add_f64 v[18:19], v[18:19], v[50:51]
	v_mul_f64 v[50:51], v[164:165], s[8:9]
	s_delay_alu instid0(VALU_DEP_4)
	v_fma_f64 v[48:49], v[164:165], s[30:31], v[42:43]
	v_fma_f64 v[42:43], v[164:165], s[30:31], -v[42:43]
	v_add_f64 v[16:17], v[16:17], v[56:57]
	scratch_load_b64 v[56:57], off, off offset:240 ; 8-byte Folded Reload
	v_add_f64 v[18:19], v[18:19], v[58:59]
	v_add_f64 v[48:49], v[0:1], v[48:49]
	;; [unrolled: 1-line block ×4, first 2 shown]
	s_delay_alu instid0(VALU_DEP_4)
	v_add_f64 v[18:19], v[18:19], v[62:63]
	v_add_f64 v[62:63], v[2:3], v[20:21]
	v_add_f64 v[20:21], v[2:3], v[28:29]
	v_mul_f64 v[28:29], v[108:109], s[34:35]
	v_add_f64 v[16:17], v[16:17], v[80:81]
	v_add_f64 v[80:81], v[0:1], v[22:23]
	;; [unrolled: 1-line block ×4, first 2 shown]
	v_fma_f64 v[30:31], v[112:113], s[38:39], v[28:29]
	v_add_f64 v[16:17], v[16:17], v[84:85]
	s_delay_alu instid0(VALU_DEP_4) | instskip(NEXT) | instid1(VALU_DEP_2)
	v_add_f64 v[18:19], v[18:19], v[86:87]
	v_add_f64 v[16:17], v[16:17], v[44:45]
	s_delay_alu instid0(VALU_DEP_2) | instskip(SKIP_2) | instid1(VALU_DEP_4)
	v_add_f64 v[18:19], v[18:19], v[46:47]
	v_fma_f64 v[46:47], v[164:165], s[34:35], v[40:41]
	v_fma_f64 v[40:41], v[164:165], s[34:35], -v[40:41]
	v_add_f64 v[12:13], v[16:17], v[12:13]
	v_mul_f64 v[16:17], v[178:179], s[30:31]
	v_add_f64 v[14:15], v[18:19], v[14:15]
	v_add_f64 v[46:47], v[0:1], v[46:47]
	;; [unrolled: 1-line block ×3, first 2 shown]
	s_waitcnt vmcnt(1)
	v_add_f64 v[36:37], v[38:39], v[36:37]
	v_mul_f64 v[38:39], v[168:169], s[40:41]
	v_add_f64 v[8:9], v[12:13], v[8:9]
	v_mul_f64 v[12:13], v[178:179], s[34:35]
	v_add_f64 v[10:11], v[14:15], v[10:11]
	v_fma_f64 v[18:19], v[182:183], s[56:57], v[16:17]
	v_fma_f64 v[16:17], v[182:183], s[54:55], v[16:17]
	v_add_f64 v[82:83], v[2:3], v[36:37]
	v_fma_f64 v[44:45], v[164:165], s[36:37], v[38:39]
	v_fma_f64 v[38:39], v[164:165], s[36:37], -v[38:39]
	v_add_f64 v[4:5], v[8:9], v[4:5]
	v_mul_f64 v[8:9], v[178:179], s[36:37]
	v_fma_f64 v[14:15], v[182:183], s[38:39], v[12:13]
	v_fma_f64 v[12:13], v[182:183], s[42:43], v[12:13]
	v_add_f64 v[6:7], v[10:11], v[6:7]
	v_add_f64 v[58:59], v[2:3], v[18:19]
	;; [unrolled: 1-line block ×7, first 2 shown]
	v_fma_f64 v[10:11], v[182:183], s[48:49], v[8:9]
	v_fma_f64 v[8:9], v[182:183], s[40:41], v[8:9]
	v_add_f64 v[14:15], v[2:3], v[14:15]
	v_mul_f64 v[182:183], v[158:159], s[22:23]
	s_waitcnt vmcnt(0)
	v_add_f64 v[50:51], v[50:51], -v[56:57]
	v_add_f64 v[56:57], v[2:3], v[12:13]
	v_mul_f64 v[12:13], v[96:97], s[8:9]
	v_add_f64 v[10:11], v[2:3], v[10:11]
	v_add_f64 v[8:9], v[2:3], v[8:9]
	;; [unrolled: 1-line block ×3, first 2 shown]
	s_delay_alu instid0(VALU_DEP_4) | instskip(SKIP_1) | instid1(VALU_DEP_2)
	v_fma_f64 v[0:1], v[100:101], s[6:7], v[12:13]
	v_fma_f64 v[12:13], v[100:101], s[44:45], v[12:13]
	v_add_f64 v[0:1], v[0:1], v[10:11]
	v_mul_f64 v[10:11], v[102:103], s[44:45]
	s_delay_alu instid0(VALU_DEP_3)
	v_add_f64 v[8:9], v[12:13], v[8:9]
	v_fma_f64 v[12:13], v[112:113], s[42:43], v[28:29]
	v_fma_f64 v[28:29], v[148:149], s[22:23], -v[194:195]
	v_add_f64 v[0:1], v[30:31], v[0:1]
	v_fma_f64 v[2:3], v[88:89], s[8:9], v[10:11]
	v_mul_f64 v[30:31], v[114:115], s[42:43]
	v_fma_f64 v[10:11], v[88:89], s[8:9], -v[10:11]
	v_add_f64 v[8:9], v[12:13], v[8:9]
	s_delay_alu instid0(VALU_DEP_4) | instskip(NEXT) | instid1(VALU_DEP_4)
	v_add_f64 v[2:3], v[2:3], v[44:45]
	v_fma_f64 v[32:33], v[92:93], s[34:35], v[30:31]
	s_delay_alu instid0(VALU_DEP_4)
	v_add_f64 v[10:11], v[10:11], v[38:39]
	v_fma_f64 v[12:13], v[92:93], s[34:35], -v[30:31]
	v_mul_f64 v[38:39], v[102:103], s[46:47]
	v_mul_f64 v[30:31], v[132:133], s[34:35]
	v_add_f64 v[2:3], v[32:33], v[2:3]
	v_mul_f64 v[32:33], v[120:121], s[10:11]
	v_add_f64 v[10:11], v[12:13], v[10:11]
	s_delay_alu instid0(VALU_DEP_2)
	v_fma_f64 v[34:35], v[126:127], s[16:17], v[32:33]
	v_fma_f64 v[12:13], v[126:127], s[50:51], v[32:33]
	scratch_load_b64 v[32:33], off, off offset:400 ; 8-byte Folded Reload
	v_add_f64 v[0:1], v[34:35], v[0:1]
	v_mul_f64 v[34:35], v[124:125], s[50:51]
	v_add_f64 v[8:9], v[12:13], v[8:9]
	s_delay_alu instid0(VALU_DEP_2)
	v_fma_f64 v[36:37], v[104:105], s[10:11], v[34:35]
	v_fma_f64 v[12:13], v[104:105], s[10:11], -v[34:35]
	scratch_load_b64 v[34:35], off, off offset:360 ; 8-byte Folded Reload
	v_add_f64 v[2:3], v[36:37], v[2:3]
	v_mul_f64 v[36:37], v[132:133], s[30:31]
	v_add_f64 v[10:11], v[12:13], v[10:11]
	s_delay_alu instid0(VALU_DEP_2) | instskip(SKIP_2) | instid1(VALU_DEP_3)
	v_fma_f64 v[44:45], v[142:143], s[56:57], v[36:37]
	v_fma_f64 v[12:13], v[142:143], s[54:55], v[36:37]
	v_mul_f64 v[36:37], v[96:97], s[18:19]
	v_add_f64 v[0:1], v[44:45], v[0:1]
	v_mul_f64 v[44:45], v[136:137], s[54:55]
	s_delay_alu instid0(VALU_DEP_4) | instskip(NEXT) | instid1(VALU_DEP_2)
	v_add_f64 v[8:9], v[12:13], v[8:9]
	v_fma_f64 v[84:85], v[116:117], s[30:31], v[44:45]
	v_fma_f64 v[12:13], v[116:117], s[30:31], -v[44:45]
	v_mul_f64 v[44:45], v[108:109], s[22:23]
	s_delay_alu instid0(VALU_DEP_3) | instskip(SKIP_1) | instid1(VALU_DEP_4)
	v_add_f64 v[2:3], v[84:85], v[2:3]
	v_mul_f64 v[84:85], v[144:145], s[18:19]
	v_add_f64 v[10:11], v[12:13], v[10:11]
	s_delay_alu instid0(VALU_DEP_2)
	v_fma_f64 v[86:87], v[156:157], s[20:21], v[84:85]
	v_fma_f64 v[12:13], v[156:157], s[46:47], v[84:85]
	v_mul_f64 v[84:85], v[120:121], s[30:31]
	s_waitcnt vmcnt(1)
	v_add_f64 v[30:31], v[32:33], v[30:31]
	v_mul_f64 v[32:33], v[120:121], s[36:37]
	v_add_f64 v[0:1], v[86:87], v[0:1]
	v_mul_f64 v[86:87], v[162:163], s[46:47]
	v_add_f64 v[8:9], v[12:13], v[8:9]
	s_delay_alu instid0(VALU_DEP_2)
	v_fma_f64 v[164:165], v[128:129], s[18:19], v[86:87]
	v_fma_f64 v[12:13], v[128:129], s[18:19], -v[86:87]
	v_mul_f64 v[86:87], v[124:125], s[56:57]
	s_waitcnt vmcnt(0)
	v_add_f64 v[32:33], v[34:35], v[32:33]
	v_mul_f64 v[34:35], v[108:109], s[30:31]
	v_add_f64 v[2:3], v[164:165], v[2:3]
	v_mul_f64 v[164:165], v[152:153], s[26:27]
	v_add_f64 v[10:11], v[12:13], v[10:11]
	s_delay_alu instid0(VALU_DEP_4) | instskip(SKIP_1) | instid1(VALU_DEP_4)
	v_add_f64 v[34:35], v[202:203], v[34:35]
	v_mul_f64 v[202:203], v[96:97], s[22:23]
	v_fma_f64 v[168:169], v[170:171], s[52:53], v[164:165]
	v_fma_f64 v[12:13], v[170:171], s[28:29], v[164:165]
	v_mul_f64 v[164:165], v[132:133], s[8:9]
	s_delay_alu instid0(VALU_DEP_4)
	v_add_f64 v[202:203], v[204:205], v[202:203]
	v_mul_f64 v[204:205], v[128:129], s[26:27]
	v_add_f64 v[0:1], v[168:169], v[0:1]
	v_mul_f64 v[168:169], v[172:173], s[28:29]
	v_add_f64 v[8:9], v[12:13], v[8:9]
	v_add_f64 v[16:17], v[202:203], v[16:17]
	v_add_f64 v[204:205], v[204:205], -v[206:207]
	v_mul_f64 v[206:207], v[116:117], s[34:35]
	v_mul_f64 v[202:203], v[104:105], s[36:37]
	v_fma_f64 v[12:13], v[138:139], s[26:27], -v[168:169]
	v_fma_f64 v[178:179], v[138:139], s[26:27], v[168:169]
	v_mul_f64 v[168:169], v[136:137], s[6:7]
	v_add_f64 v[16:17], v[34:35], v[16:17]
	v_mul_f64 v[34:35], v[152:153], s[18:19]
	v_add_f64 v[206:207], v[206:207], -v[208:209]
	v_mul_f64 v[208:209], v[88:89], s[22:23]
	v_add_f64 v[12:13], v[12:13], v[10:11]
	v_fma_f64 v[10:11], v[174:175], s[58:59], v[182:183]
	v_add_f64 v[178:179], v[178:179], v[2:3]
	v_fma_f64 v[2:3], v[174:175], s[24:25], v[182:183]
	v_mul_f64 v[182:183], v[162:163], s[40:41]
	v_add_f64 v[16:17], v[32:33], v[16:17]
	v_mul_f64 v[32:33], v[138:139], s[18:19]
	v_add_f64 v[34:35], v[213:214], v[34:35]
	v_add_f64 v[208:209], v[208:209], -v[210:211]
	v_mul_f64 v[210:211], v[92:93], s[30:31]
	v_add_f64 v[10:11], v[10:11], v[8:9]
	v_add_f64 v[8:9], v[28:29], v[12:13]
	v_fma_f64 v[12:13], v[100:101], s[20:21], v[36:37]
	v_fma_f64 v[28:29], v[112:113], s[58:59], v[44:45]
	v_add_f64 v[2:3], v[2:3], v[0:1]
	v_fma_f64 v[0:1], v[148:149], s[22:23], v[194:195]
	v_mul_f64 v[194:195], v[152:153], s[10:11]
	v_fma_f64 v[36:37], v[100:101], s[46:47], v[36:37]
	v_add_f64 v[16:17], v[30:31], v[16:17]
	v_mul_f64 v[30:31], v[158:159], s[8:9]
	v_add_f64 v[18:19], v[208:209], v[18:19]
	scratch_load_b64 v[208:209], off, off offset:296 ; 8-byte Folded Reload
	v_add_f64 v[12:13], v[12:13], v[14:15]
	v_fma_f64 v[14:15], v[88:89], s[18:19], v[38:39]
	v_fma_f64 v[38:39], v[88:89], s[18:19], -v[38:39]
	v_add_f64 v[0:1], v[0:1], v[178:179]
	v_mul_f64 v[178:179], v[144:145], s[36:37]
	v_add_f64 v[36:37], v[36:37], v[56:57]
	v_add_f64 v[30:31], v[219:220], v[30:31]
	;; [unrolled: 1-line block ×4, first 2 shown]
	v_mul_f64 v[46:47], v[114:115], s[24:25]
	v_add_f64 v[38:39], v[38:39], v[40:41]
	v_fma_f64 v[40:41], v[112:113], s[24:25], v[44:45]
	v_fma_f64 v[44:45], v[148:149], s[26:27], -v[200:201]
	s_delay_alu instid0(VALU_DEP_4) | instskip(NEXT) | instid1(VALU_DEP_3)
	v_fma_f64 v[28:29], v[92:93], s[22:23], v[46:47]
	v_add_f64 v[36:37], v[40:41], v[36:37]
	v_fma_f64 v[40:41], v[92:93], s[22:23], -v[46:47]
	s_delay_alu instid0(VALU_DEP_3) | instskip(SKIP_1) | instid1(VALU_DEP_3)
	v_add_f64 v[14:15], v[28:29], v[14:15]
	v_fma_f64 v[28:29], v[126:127], s[54:55], v[84:85]
	v_add_f64 v[38:39], v[40:41], v[38:39]
	v_fma_f64 v[40:41], v[126:127], s[56:57], v[84:85]
	s_delay_alu instid0(VALU_DEP_3) | instskip(SKIP_1) | instid1(VALU_DEP_3)
	v_add_f64 v[12:13], v[28:29], v[12:13]
	v_fma_f64 v[28:29], v[104:105], s[30:31], v[86:87]
	v_add_f64 v[36:37], v[40:41], v[36:37]
	v_fma_f64 v[40:41], v[104:105], s[30:31], -v[86:87]
	scratch_load_b64 v[86:87], off, off offset:32 ; 8-byte Folded Reload
	v_add_f64 v[14:15], v[28:29], v[14:15]
	v_fma_f64 v[28:29], v[142:143], s[44:45], v[164:165]
	v_add_f64 v[38:39], v[40:41], v[38:39]
	v_fma_f64 v[40:41], v[142:143], s[6:7], v[164:165]
	s_delay_alu instid0(VALU_DEP_3) | instskip(SKIP_1) | instid1(VALU_DEP_3)
	v_add_f64 v[12:13], v[28:29], v[12:13]
	v_fma_f64 v[28:29], v[116:117], s[8:9], v[168:169]
	v_add_f64 v[36:37], v[40:41], v[36:37]
	v_fma_f64 v[40:41], v[116:117], s[8:9], -v[168:169]
	s_delay_alu instid0(VALU_DEP_3) | instskip(SKIP_1) | instid1(VALU_DEP_3)
	v_add_f64 v[14:15], v[28:29], v[14:15]
	v_fma_f64 v[28:29], v[156:157], s[48:49], v[178:179]
	v_add_f64 v[38:39], v[40:41], v[38:39]
	v_fma_f64 v[40:41], v[156:157], s[40:41], v[178:179]
	s_waitcnt vmcnt(1)
	v_add_f64 v[202:203], v[202:203], -v[208:209]
	s_delay_alu instid0(VALU_DEP_4) | instskip(SKIP_1) | instid1(VALU_DEP_4)
	v_add_f64 v[12:13], v[28:29], v[12:13]
	v_fma_f64 v[28:29], v[128:129], s[36:37], v[182:183]
	v_add_f64 v[36:37], v[40:41], v[36:37]
	v_fma_f64 v[40:41], v[128:129], s[36:37], -v[182:183]
	s_delay_alu instid0(VALU_DEP_3) | instskip(SKIP_1) | instid1(VALU_DEP_3)
	v_add_f64 v[14:15], v[28:29], v[14:15]
	v_fma_f64 v[28:29], v[170:171], s[16:17], v[194:195]
	v_add_f64 v[38:39], v[40:41], v[38:39]
	v_fma_f64 v[40:41], v[170:171], s[50:51], v[194:195]
	s_delay_alu instid0(VALU_DEP_3) | instskip(SKIP_1) | instid1(VALU_DEP_3)
	v_add_f64 v[12:13], v[28:29], v[12:13]
	v_fma_f64 v[28:29], v[138:139], s[10:11], v[196:197]
	v_add_f64 v[36:37], v[40:41], v[36:37]
	v_fma_f64 v[40:41], v[138:139], s[10:11], -v[196:197]
	s_delay_alu instid0(VALU_DEP_3) | instskip(SKIP_1) | instid1(VALU_DEP_3)
	v_add_f64 v[28:29], v[28:29], v[14:15]
	v_fma_f64 v[14:15], v[174:175], s[52:53], v[198:199]
	v_add_f64 v[40:41], v[40:41], v[38:39]
	v_fma_f64 v[38:39], v[174:175], s[28:29], v[198:199]
	s_delay_alu instid0(VALU_DEP_3) | instskip(SKIP_1) | instid1(VALU_DEP_3)
	v_add_f64 v[14:15], v[14:15], v[12:13]
	v_fma_f64 v[12:13], v[148:149], s[26:27], v[200:201]
	v_add_f64 v[38:39], v[38:39], v[36:37]
	v_add_f64 v[36:37], v[44:45], v[40:41]
	s_delay_alu instid0(VALU_DEP_3) | instskip(SKIP_1) | instid1(VALU_DEP_1)
	v_add_f64 v[12:13], v[12:13], v[28:29]
	v_mul_f64 v[28:29], v[144:145], s[26:27]
	v_add_f64 v[28:29], v[221:222], v[28:29]
	scratch_load_b64 v[221:222], off, off offset:280 ; 8-byte Folded Reload
	v_add_f64 v[16:17], v[28:29], v[16:17]
	v_mul_f64 v[28:29], v[148:149], s[8:9]
	s_delay_alu instid0(VALU_DEP_2) | instskip(SKIP_1) | instid1(VALU_DEP_1)
	v_add_f64 v[16:17], v[34:35], v[16:17]
	v_mul_f64 v[34:35], v[108:109], s[36:37]
	v_add_f64 v[34:35], v[223:224], v[34:35]
	s_waitcnt vmcnt(0)
	v_add_f64 v[210:211], v[210:211], -v[221:222]
	s_delay_alu instid0(VALU_DEP_1) | instskip(NEXT) | instid1(VALU_DEP_1)
	v_add_f64 v[18:19], v[210:211], v[18:19]
	v_add_f64 v[18:19], v[202:203], v[18:19]
	scratch_load_b64 v[202:203], off, off offset:344 ; 8-byte Folded Reload
	v_add_f64 v[18:19], v[206:207], v[18:19]
	scratch_load_b64 v[206:207], off, off offset:384 ; 8-byte Folded Reload
	;; [unrolled: 2-line block ×3, first 2 shown]
	s_waitcnt vmcnt(2)
	v_add_f64 v[32:33], v[32:33], -v[202:203]
	scratch_load_b64 v[202:203], off, off offset:368 ; 8-byte Folded Reload
	v_add_f64 v[32:33], v[32:33], v[18:19]
	v_add_f64 v[18:19], v[30:31], v[16:17]
	v_mul_f64 v[30:31], v[132:133], s[10:11]
	s_delay_alu instid0(VALU_DEP_1) | instskip(SKIP_1) | instid1(VALU_DEP_1)
	v_add_f64 v[30:31], v[106:107], v[30:31]
	v_mul_f64 v[106:107], v[96:97], s[30:31]
	v_add_f64 v[106:107], v[215:216], v[106:107]
	s_delay_alu instid0(VALU_DEP_1) | instskip(SKIP_1) | instid1(VALU_DEP_2)
	v_add_f64 v[20:21], v[106:107], v[20:21]
	v_mul_f64 v[106:107], v[104:105], s[26:27]
	v_add_f64 v[20:21], v[34:35], v[20:21]
	v_mul_f64 v[34:35], v[152:153], s[22:23]
	s_delay_alu instid0(VALU_DEP_1) | instskip(SKIP_3) | instid1(VALU_DEP_2)
	v_add_f64 v[34:35], v[247:248], v[34:35]
	s_waitcnt vmcnt(0)
	v_add_f64 v[28:29], v[28:29], -v[202:203]
	v_mul_f64 v[202:203], v[88:89], s[30:31]
	v_add_f64 v[16:17], v[28:29], v[32:33]
	s_delay_alu instid0(VALU_DEP_2) | instskip(SKIP_3) | instid1(VALU_DEP_4)
	v_add_f64 v[202:203], v[202:203], -v[204:205]
	v_mul_f64 v[28:29], v[144:145], s[8:9]
	v_mul_f64 v[204:205], v[92:93], s[36:37]
	;; [unrolled: 1-line block ×3, first 2 shown]
	v_add_f64 v[22:23], v[202:203], v[22:23]
	scratch_load_b64 v[202:203], off, off offset:392 ; 8-byte Folded Reload
	v_add_f64 v[28:29], v[160:161], v[28:29]
	v_mul_f64 v[160:161], v[128:129], s[8:9]
	v_add_f64 v[204:205], v[204:205], -v[206:207]
	v_add_f64 v[32:33], v[239:240], v[32:33]
	s_delay_alu instid0(VALU_DEP_3) | instskip(SKIP_1) | instid1(VALU_DEP_4)
	v_add_f64 v[94:95], v[160:161], -v[94:95]
	v_mul_f64 v[160:161], v[116:117], s[10:11]
	v_add_f64 v[22:23], v[204:205], v[22:23]
	s_delay_alu instid0(VALU_DEP_4) | instskip(SKIP_1) | instid1(VALU_DEP_4)
	v_add_f64 v[20:21], v[32:33], v[20:21]
	v_mul_f64 v[32:33], v[138:139], s[22:23]
	v_add_f64 v[160:161], v[160:161], -v[235:236]
	s_delay_alu instid0(VALU_DEP_3) | instskip(NEXT) | instid1(VALU_DEP_3)
	v_add_f64 v[20:21], v[30:31], v[20:21]
	v_add_f64 v[32:33], v[32:33], -v[237:238]
	v_mul_f64 v[30:31], v[158:159], s[34:35]
	s_delay_alu instid0(VALU_DEP_3) | instskip(SKIP_1) | instid1(VALU_DEP_3)
	v_add_f64 v[20:21], v[28:29], v[20:21]
	v_mul_f64 v[28:29], v[148:149], s[34:35]
	v_add_f64 v[30:31], v[245:246], v[30:31]
	s_delay_alu instid0(VALU_DEP_3) | instskip(NEXT) | instid1(VALU_DEP_3)
	v_add_f64 v[20:21], v[34:35], v[20:21]
	v_add_f64 v[28:29], v[28:29], -v[231:232]
	v_mul_f64 v[34:35], v[108:109], s[26:27]
	s_delay_alu instid0(VALU_DEP_1) | instskip(SKIP_2) | instid1(VALU_DEP_1)
	v_add_f64 v[34:35], v[251:252], v[34:35]
	s_waitcnt vmcnt(0)
	v_add_f64 v[106:107], v[106:107], -v[202:203]
	v_add_f64 v[22:23], v[106:107], v[22:23]
	v_mul_f64 v[106:107], v[128:129], s[34:35]
	s_delay_alu instid0(VALU_DEP_2) | instskip(NEXT) | instid1(VALU_DEP_2)
	v_add_f64 v[22:23], v[160:161], v[22:23]
	v_add_f64 v[106:107], v[106:107], -v[146:147]
	v_mul_f64 v[146:147], v[92:93], s[26:27]
	s_delay_alu instid0(VALU_DEP_3) | instskip(SKIP_1) | instid1(VALU_DEP_3)
	v_add_f64 v[22:23], v[94:95], v[22:23]
	v_mul_f64 v[94:95], v[96:97], s[36:37]
	v_add_f64 v[146:147], v[146:147], -v[225:226]
	s_delay_alu instid0(VALU_DEP_3) | instskip(SKIP_1) | instid1(VALU_DEP_4)
	v_add_f64 v[32:33], v[32:33], v[22:23]
	v_add_f64 v[22:23], v[30:31], v[20:21]
	;; [unrolled: 1-line block ×3, first 2 shown]
	v_mul_f64 v[30:31], v[132:133], s[18:19]
	s_delay_alu instid0(VALU_DEP_4) | instskip(SKIP_1) | instid1(VALU_DEP_4)
	v_add_f64 v[20:21], v[28:29], v[32:33]
	v_mul_f64 v[32:33], v[120:121], s[8:9]
	v_add_f64 v[24:25], v[94:95], v[24:25]
	v_mul_f64 v[94:95], v[104:105], s[8:9]
	v_mul_f64 v[28:29], v[144:145], s[34:35]
	v_add_f64 v[30:31], v[154:155], v[30:31]
	v_add_f64 v[32:33], v[118:119], v[32:33]
	v_mul_f64 v[118:119], v[116:117], s[18:19]
	v_add_f64 v[94:95], v[94:95], -v[229:230]
	v_add_f64 v[24:25], v[34:35], v[24:25]
	v_add_f64 v[28:29], v[188:189], v[28:29]
	v_mul_f64 v[34:35], v[152:153], s[30:31]
	v_add_f64 v[98:99], v[118:119], -v[98:99]
	v_mul_f64 v[118:119], v[88:89], s[36:37]
	v_add_f64 v[24:25], v[32:33], v[24:25]
	v_mul_f64 v[32:33], v[138:139], s[30:31]
	v_add_f64 v[34:35], v[122:123], v[34:35]
	s_delay_alu instid0(VALU_DEP_4) | instskip(NEXT) | instid1(VALU_DEP_4)
	v_add_f64 v[118:119], v[118:119], -v[217:218]
	v_add_f64 v[24:25], v[30:31], v[24:25]
	s_delay_alu instid0(VALU_DEP_4)
	v_add_f64 v[32:33], v[32:33], -v[90:91]
	v_mul_f64 v[30:31], v[158:159], s[10:11]
	v_mul_f64 v[90:91], v[96:97], s[34:35]
	v_add_f64 v[26:27], v[118:119], v[26:27]
	v_add_f64 v[24:25], v[28:29], v[24:25]
	v_mul_f64 v[28:29], v[148:149], s[10:11]
	v_add_f64 v[30:31], v[110:111], v[30:31]
	v_add_f64 v[90:91], v[253:254], v[90:91]
	;; [unrolled: 3-line block ×3, first 2 shown]
	v_add_f64 v[28:29], v[28:29], -v[249:250]
	v_mul_f64 v[34:35], v[108:109], s[10:11]
	v_add_f64 v[62:63], v[90:91], v[62:63]
	v_add_f64 v[110:111], v[110:111], -v[241:242]
	v_mul_f64 v[90:91], v[104:105], s[18:19]
	v_add_f64 v[26:27], v[94:95], v[26:27]
	v_mul_f64 v[94:95], v[128:129], s[22:23]
	v_add_f64 v[34:35], v[134:135], v[34:35]
	s_delay_alu instid0(VALU_DEP_4) | instskip(NEXT) | instid1(VALU_DEP_4)
	v_add_f64 v[90:91], v[90:91], -v[243:244]
	v_add_f64 v[26:27], v[98:99], v[26:27]
	v_mul_f64 v[98:99], v[116:117], s[36:37]
	v_add_f64 v[94:95], v[94:95], -v[186:187]
	v_add_f64 v[34:35], v[34:35], v[62:63]
	s_delay_alu instid0(VALU_DEP_4) | instskip(SKIP_2) | instid1(VALU_DEP_3)
	v_add_f64 v[26:27], v[106:107], v[26:27]
	v_mul_f64 v[106:107], v[88:89], s[34:35]
	v_add_f64 v[98:99], v[98:99], -v[150:151]
	v_add_f64 v[32:33], v[32:33], v[26:27]
	s_delay_alu instid0(VALU_DEP_3) | instskip(SKIP_2) | instid1(VALU_DEP_4)
	v_add_f64 v[106:107], v[106:107], -v[227:228]
	v_add_f64 v[26:27], v[30:31], v[24:25]
	v_mul_f64 v[30:31], v[132:133], s[36:37]
	v_add_f64 v[24:25], v[28:29], v[32:33]
	v_mul_f64 v[32:33], v[120:121], s[18:19]
	;; [unrolled: 2-line block ×3, first 2 shown]
	v_add_f64 v[30:31], v[190:191], v[30:31]
	s_delay_alu instid0(VALU_DEP_4) | instskip(NEXT) | instid1(VALU_DEP_4)
	v_add_f64 v[32:33], v[180:181], v[32:33]
	v_add_f64 v[62:63], v[110:111], v[80:81]
	s_delay_alu instid0(VALU_DEP_4) | instskip(SKIP_1) | instid1(VALU_DEP_4)
	v_add_f64 v[28:29], v[192:193], v[28:29]
	v_mul_f64 v[80:81], v[152:153], s[8:9]
	v_add_f64 v[32:33], v[32:33], v[34:35]
	s_delay_alu instid0(VALU_DEP_4) | instskip(SKIP_1) | instid1(VALU_DEP_4)
	v_add_f64 v[34:35], v[90:91], v[62:63]
	v_mul_f64 v[62:63], v[138:139], s[8:9]
	v_add_f64 v[80:81], v[184:185], v[80:81]
	s_delay_alu instid0(VALU_DEP_4) | instskip(NEXT) | instid1(VALU_DEP_4)
	v_add_f64 v[30:31], v[30:31], v[32:33]
	v_add_f64 v[32:33], v[98:99], v[34:35]
	s_delay_alu instid0(VALU_DEP_4) | instskip(SKIP_1) | instid1(VALU_DEP_4)
	v_add_f64 v[62:63], v[62:63], -v[140:141]
	v_mul_f64 v[34:35], v[158:159], s[30:31]
	v_add_f64 v[28:29], v[28:29], v[30:31]
	s_delay_alu instid0(VALU_DEP_4) | instskip(SKIP_1) | instid1(VALU_DEP_4)
	v_add_f64 v[30:31], v[94:95], v[32:33]
	v_mul_f64 v[32:33], v[148:149], s[30:31]
	v_add_f64 v[34:35], v[166:167], v[34:35]
	s_delay_alu instid0(VALU_DEP_4) | instskip(NEXT) | instid1(VALU_DEP_4)
	v_add_f64 v[28:29], v[80:81], v[28:29]
	v_add_f64 v[62:63], v[62:63], v[30:31]
	s_delay_alu instid0(VALU_DEP_4) | instskip(SKIP_1) | instid1(VALU_DEP_4)
	v_add_f64 v[32:33], v[32:33], -v[130:131]
	v_mul_f64 v[130:131], v[158:159], s[18:19]
	v_add_f64 v[30:31], v[34:35], v[28:29]
	s_delay_alu instid0(VALU_DEP_3) | instskip(SKIP_1) | instid1(VALU_DEP_4)
	v_add_f64 v[28:29], v[32:33], v[62:63]
	v_mul_f64 v[62:63], v[96:97], s[26:27]
	v_fma_f64 v[84:85], v[174:175], s[20:21], v[130:131]
	s_delay_alu instid0(VALU_DEP_2) | instskip(SKIP_1) | instid1(VALU_DEP_2)
	v_fma_f64 v[32:33], v[100:101], s[52:53], v[62:63]
	v_fma_f64 v[40:41], v[100:101], s[28:29], v[62:63]
	v_add_f64 v[32:33], v[32:33], v[60:61]
	v_mul_f64 v[60:61], v[102:103], s[52:53]
	s_delay_alu instid0(VALU_DEP_3) | instskip(NEXT) | instid1(VALU_DEP_2)
	v_add_f64 v[40:41], v[40:41], v[58:59]
	v_fma_f64 v[34:35], v[88:89], s[26:27], -v[60:61]
	v_fma_f64 v[58:59], v[88:89], s[26:27], v[60:61]
	scratch_load_b64 v[60:61], off, off offset:48 ; 8-byte Folded Reload
	v_add_f64 v[34:35], v[34:35], v[42:43]
	v_mul_f64 v[42:43], v[108:109], s[8:9]
	v_add_f64 v[48:49], v[58:59], v[48:49]
	scratch_load_b64 v[58:59], off, off offset:80 ; 8-byte Folded Reload
	v_fma_f64 v[80:81], v[112:113], s[6:7], v[42:43]
	v_fma_f64 v[42:43], v[112:113], s[44:45], v[42:43]
	s_delay_alu instid0(VALU_DEP_2) | instskip(SKIP_1) | instid1(VALU_DEP_3)
	v_add_f64 v[32:33], v[80:81], v[32:33]
	v_mul_f64 v[80:81], v[114:115], s[6:7]
	v_add_f64 v[40:41], v[42:43], v[40:41]
	s_delay_alu instid0(VALU_DEP_2) | instskip(SKIP_1) | instid1(VALU_DEP_2)
	v_fma_f64 v[90:91], v[92:93], s[8:9], -v[80:81]
	v_fma_f64 v[42:43], v[92:93], s[8:9], v[80:81]
	v_add_f64 v[34:35], v[90:91], v[34:35]
	v_mul_f64 v[90:91], v[120:121], s[34:35]
	s_delay_alu instid0(VALU_DEP_3) | instskip(NEXT) | instid1(VALU_DEP_2)
	v_add_f64 v[42:43], v[42:43], v[48:49]
	v_fma_f64 v[94:95], v[126:127], s[42:43], v[90:91]
	v_fma_f64 v[62:63], v[126:127], s[38:39], v[90:91]
	s_delay_alu instid0(VALU_DEP_2) | instskip(SKIP_1) | instid1(VALU_DEP_3)
	v_add_f64 v[32:33], v[94:95], v[32:33]
	v_mul_f64 v[94:95], v[124:125], s[42:43]
	v_add_f64 v[40:41], v[62:63], v[40:41]
	v_mul_f64 v[124:125], v[176:177], s[46:47]
	s_clause 0x1
	scratch_load_b64 v[62:63], off, off offset:128
	scratch_load_b64 v[80:81], off, off offset:96
	v_fma_f64 v[98:99], v[104:105], s[34:35], -v[94:95]
	v_fma_f64 v[48:49], v[104:105], s[34:35], v[94:95]
	s_delay_alu instid0(VALU_DEP_2) | instskip(SKIP_1) | instid1(VALU_DEP_3)
	v_add_f64 v[34:35], v[98:99], v[34:35]
	v_mul_f64 v[98:99], v[132:133], s[22:23]
	v_add_f64 v[42:43], v[48:49], v[42:43]
	s_delay_alu instid0(VALU_DEP_2) | instskip(SKIP_1) | instid1(VALU_DEP_2)
	v_fma_f64 v[102:103], v[142:143], s[58:59], v[98:99]
	v_fma_f64 v[56:57], v[142:143], s[24:25], v[98:99]
	v_add_f64 v[32:33], v[102:103], v[32:33]
	v_mul_f64 v[102:103], v[136:137], s[58:59]
	s_delay_alu instid0(VALU_DEP_3) | instskip(SKIP_3) | instid1(VALU_DEP_2)
	v_add_f64 v[40:41], v[56:57], v[40:41]
	scratch_load_b64 v[56:57], off, off offset:112 ; 8-byte Folded Reload
	v_fma_f64 v[106:107], v[116:117], s[22:23], -v[102:103]
	v_fma_f64 v[48:49], v[116:117], s[22:23], v[102:103]
	v_add_f64 v[34:35], v[106:107], v[34:35]
	v_mul_f64 v[106:107], v[144:145], s[10:11]
	s_delay_alu instid0(VALU_DEP_3) | instskip(SKIP_3) | instid1(VALU_DEP_2)
	v_add_f64 v[42:43], v[48:49], v[42:43]
	scratch_load_b64 v[48:49], off, off offset:144 ; 8-byte Folded Reload
	v_fma_f64 v[110:111], v[156:157], s[16:17], v[106:107]
	v_fma_f64 v[46:47], v[156:157], s[50:51], v[106:107]
	v_add_f64 v[32:33], v[110:111], v[32:33]
	v_mul_f64 v[110:111], v[162:163], s[16:17]
	s_delay_alu instid0(VALU_DEP_3) | instskip(NEXT) | instid1(VALU_DEP_2)
	v_add_f64 v[40:41], v[46:47], v[40:41]
	v_fma_f64 v[114:115], v[128:129], s[10:11], -v[110:111]
	v_fma_f64 v[46:47], v[128:129], s[10:11], v[110:111]
	s_delay_alu instid0(VALU_DEP_2) | instskip(SKIP_1) | instid1(VALU_DEP_3)
	v_add_f64 v[34:35], v[114:115], v[34:35]
	v_mul_f64 v[114:115], v[152:153], s[36:37]
	v_add_f64 v[42:43], v[46:47], v[42:43]
	v_fma_f64 v[46:47], v[148:149], s[18:19], v[124:125]
	s_delay_alu instid0(VALU_DEP_3) | instskip(SKIP_1) | instid1(VALU_DEP_2)
	v_fma_f64 v[118:119], v[170:171], s[40:41], v[114:115]
	v_fma_f64 v[44:45], v[170:171], s[48:49], v[114:115]
	v_add_f64 v[32:33], v[118:119], v[32:33]
	v_mul_f64 v[118:119], v[172:173], s[40:41]
	s_delay_alu instid0(VALU_DEP_3) | instskip(NEXT) | instid1(VALU_DEP_2)
	v_add_f64 v[40:41], v[44:45], v[40:41]
	v_fma_f64 v[44:45], v[138:139], s[36:37], v[118:119]
	v_fma_f64 v[122:123], v[138:139], s[36:37], -v[118:119]
	s_delay_alu instid0(VALU_DEP_2) | instskip(NEXT) | instid1(VALU_DEP_4)
	v_add_f64 v[44:45], v[44:45], v[42:43]
	v_add_f64 v[42:43], v[84:85], v[40:41]
	scratch_load_b64 v[84:85], off, off offset:16 ; 8-byte Folded Reload
	v_add_f64 v[122:123], v[122:123], v[34:35]
	v_fma_f64 v[34:35], v[174:175], s[46:47], v[130:131]
	v_add_f64 v[40:41], v[46:47], v[44:45]
	scratch_load_b64 v[46:47], off, off offset:176 ; 8-byte Folded Reload
	v_mul_f64 v[44:45], v[144:145], s[30:31]
	v_add_f64 v[34:35], v[34:35], v[32:33]
	v_fma_f64 v[32:33], v[148:149], s[18:19], -v[124:125]
	s_delay_alu instid0(VALU_DEP_1) | instskip(SKIP_1) | instid1(VALU_DEP_4)
	v_add_f64 v[32:33], v[32:33], v[122:123]
	s_waitcnt vmcnt(0)
	v_add_f64 v[44:45], v[46:47], v[44:45]
	v_mul_f64 v[46:47], v[132:133], s[26:27]
	s_delay_alu instid0(VALU_DEP_1) | instskip(SKIP_1) | instid1(VALU_DEP_1)
	v_add_f64 v[46:47], v[48:49], v[46:47]
	v_mul_f64 v[48:49], v[120:121], s[22:23]
	v_add_f64 v[48:49], v[56:57], v[48:49]
	v_mul_f64 v[56:57], v[108:109], s[18:19]
	s_delay_alu instid0(VALU_DEP_1) | instskip(SKIP_1) | instid1(VALU_DEP_1)
	v_add_f64 v[56:57], v[58:59], v[56:57]
	v_mul_f64 v[58:59], v[96:97], s[10:11]
	v_add_f64 v[58:59], v[60:61], v[58:59]
	v_mul_f64 v[60:61], v[128:129], s[30:31]
	s_delay_alu instid0(VALU_DEP_2)
	v_add_f64 v[58:59], v[58:59], v[82:83]
	scratch_load_b64 v[82:83], off, off offset:64 ; 8-byte Folded Reload
	v_add_f64 v[60:61], v[60:61], -v[62:63]
	v_mul_f64 v[62:63], v[116:117], s[26:27]
	v_add_f64 v[56:57], v[56:57], v[58:59]
	v_mul_f64 v[58:59], v[152:153], s[34:35]
	s_delay_alu instid0(VALU_DEP_3) | instskip(SKIP_1) | instid1(VALU_DEP_4)
	v_add_f64 v[62:63], v[62:63], -v[80:81]
	v_mul_f64 v[80:81], v[88:89], s[10:11]
	v_add_f64 v[48:49], v[48:49], v[56:57]
	v_mul_f64 v[56:57], v[138:139], s[34:35]
	s_delay_alu instid0(VALU_DEP_3) | instskip(SKIP_1) | instid1(VALU_DEP_4)
	v_add_f64 v[80:81], v[80:81], -v[84:85]
	v_mul_f64 v[84:85], v[92:93], s[18:19]
	v_add_f64 v[46:47], v[46:47], v[48:49]
	s_delay_alu instid0(VALU_DEP_3) | instskip(NEXT) | instid1(VALU_DEP_3)
	v_add_f64 v[50:51], v[80:81], v[50:51]
	v_add_f64 v[84:85], v[84:85], -v[86:87]
	v_mul_f64 v[80:81], v[104:105], s[22:23]
	s_delay_alu instid0(VALU_DEP_4) | instskip(NEXT) | instid1(VALU_DEP_3)
	v_add_f64 v[44:45], v[44:45], v[46:47]
	v_add_f64 v[50:51], v[84:85], v[50:51]
	s_waitcnt vmcnt(0)
	s_delay_alu instid0(VALU_DEP_3)
	v_add_f64 v[80:81], v[80:81], -v[82:83]
	scratch_load_b64 v[82:83], off, off offset:208 ; 8-byte Folded Reload
	v_add_f64 v[50:51], v[80:81], v[50:51]
	scratch_load_b64 v[80:81], off, off offset:160 ; 8-byte Folded Reload
	v_add_f64 v[48:49], v[62:63], v[50:51]
	scratch_load_b64 v[62:63], off, off offset:224 ; 8-byte Folded Reload
	v_mul_f64 v[50:51], v[158:159], s[36:37]
	v_add_f64 v[46:47], v[60:61], v[48:49]
	scratch_load_b64 v[60:61], off, off offset:192 ; 8-byte Folded Reload
	v_mul_f64 v[48:49], v[148:149], s[36:37]
	s_waitcnt vmcnt(3)
	v_add_f64 v[58:59], v[82:83], v[58:59]
	s_waitcnt vmcnt(2)
	v_add_f64 v[56:57], v[56:57], -v[80:81]
	s_delay_alu instid0(VALU_DEP_2) | instskip(SKIP_2) | instid1(VALU_DEP_3)
	v_add_f64 v[44:45], v[58:59], v[44:45]
	s_waitcnt vmcnt(1)
	v_add_f64 v[50:51], v[62:63], v[50:51]
	v_add_f64 v[56:57], v[56:57], v[46:47]
	s_waitcnt vmcnt(0)
	v_add_f64 v[48:49], v[48:49], -v[60:61]
	s_delay_alu instid0(VALU_DEP_3) | instskip(NEXT) | instid1(VALU_DEP_2)
	v_add_f64 v[46:47], v[50:51], v[44:45]
	v_add_f64 v[44:45], v[48:49], v[56:57]
	scratch_load_b32 v48, off, off          ; 4-byte Folded Reload
	s_waitcnt vmcnt(0)
	v_mul_lo_u16 v48, v48, 17
	s_delay_alu instid0(VALU_DEP_1) | instskip(NEXT) | instid1(VALU_DEP_1)
	v_and_b32_e32 v48, 0xffff, v48
	v_add_lshl_u32 v48, v212, v48, 4
	ds_store_b128 v48, v[16:19] offset:32
	ds_store_b128 v48, v[68:71] offset:192
	ds_store_b128 v48, v[72:75] offset:208
	ds_store_b128 v48, v[64:67] offset:224
	ds_store_b128 v48, v[76:79] offset:240
	ds_store_b128 v48, v[20:23] offset:48
	ds_store_b128 v48, v[24:27] offset:64
	ds_store_b128 v48, v[28:31] offset:80
	ds_store_b128 v48, v[32:35] offset:96
	ds_store_b128 v48, v[36:39] offset:112
	ds_store_b128 v48, v[8:11] offset:128
	ds_store_b128 v48, v[0:3] offset:144
	ds_store_b128 v48, v[12:15] offset:160
	ds_store_b128 v48, v[40:43] offset:176
	ds_store_b128 v48, v[44:47] offset:16
	ds_store_b128 v48, v[4:7]
	ds_store_b128 v48, v[52:55] offset:256
.LBB0_7:
	s_or_b32 exec_lo, exec_lo, s0
	scratch_load_b32 v0, off, off           ; 4-byte Folded Reload
	s_waitcnt vmcnt(0) lgkmcnt(0)
	s_barrier
	buffer_gl0_inv
                                        ; implicit-def: $vgpr128_vgpr129
	v_add_lshl_u32 v255, v212, v0, 4
	v_cmp_gt_u16_e64 s0, 17, v0
	ds_load_b128 v[84:87], v255
	ds_load_b128 v[80:83], v255 offset:1632
	ds_load_b128 v[108:111], v255 offset:3536
	;; [unrolled: 1-line block ×11, first 2 shown]
	s_and_saveexec_b32 s1, s0
	s_cbranch_execz .LBB0_9
; %bb.8:
	ds_load_b128 v[68:71], v255 offset:3264
	ds_load_b128 v[72:75], v255 offset:6800
	;; [unrolled: 1-line block ×6, first 2 shown]
.LBB0_9:
	s_or_b32 exec_lo, exec_lo, s1
	scratch_load_b32 v5, off, off           ; 4-byte Folded Reload
	s_mov_b32 s6, 0xe8584caa
	s_mov_b32 s7, 0x3febb67a
	;; [unrolled: 1-line block ×4, first 2 shown]
	s_waitcnt vmcnt(0)
	v_and_b32_e32 v0, 0xff, v5
	v_add_nc_u16 v1, v5, 0x66
	v_add_nc_u32_e32 v3, 0xcc, v5
	s_delay_alu instid0(VALU_DEP_3) | instskip(NEXT) | instid1(VALU_DEP_3)
	v_mul_lo_u16 v0, 0xf1, v0
	v_and_b32_e32 v2, 0xff, v1
	s_delay_alu instid0(VALU_DEP_2) | instskip(NEXT) | instid1(VALU_DEP_2)
	v_lshrrev_b16 v16, 12, v0
	v_mul_lo_u16 v0, 0xf1, v2
	v_and_b32_e32 v2, 0xffff, v3
	s_delay_alu instid0(VALU_DEP_3) | instskip(NEXT) | instid1(VALU_DEP_3)
	v_mul_lo_u16 v4, v16, 17
	v_lshrrev_b16 v9, 12, v0
	s_delay_alu instid0(VALU_DEP_3) | instskip(NEXT) | instid1(VALU_DEP_3)
	v_mul_u32_u24_e32 v0, 0xf0f1, v2
	v_sub_nc_u16 v2, v5, v4
	s_delay_alu instid0(VALU_DEP_3) | instskip(NEXT) | instid1(VALU_DEP_3)
	v_mul_lo_u16 v4, v9, 17
	v_lshrrev_b32_e32 v0, 20, v0
	v_and_b32_e32 v9, 0xffff, v9
	s_delay_alu instid0(VALU_DEP_4) | instskip(NEXT) | instid1(VALU_DEP_4)
	v_and_b32_e32 v10, 0xff, v2
	v_sub_nc_u16 v2, v1, v4
	s_delay_alu instid0(VALU_DEP_4) | instskip(NEXT) | instid1(VALU_DEP_4)
	v_mul_lo_u16 v4, v0, 17
	v_mul_u32_u24_e32 v9, 0x66, v9
	s_delay_alu instid0(VALU_DEP_4) | instskip(NEXT) | instid1(VALU_DEP_4)
	v_mad_u64_u32 v[0:1], null, 0x50, v10, s[2:3]
	v_and_b32_e32 v11, 0xff, v2
	s_delay_alu instid0(VALU_DEP_4)
	v_sub_nc_u16 v8, v3, v4
	s_clause 0x1
	global_load_b128 v[160:163], v[0:1], off offset:32
	global_load_b128 v[164:167], v[0:1], off offset:64
	v_mad_u64_u32 v[2:3], null, 0x50, v11, s[2:3]
	v_mul_lo_u16 v4, 0x50, v8
	v_and_b32_e32 v8, 0xffff, v8
	s_clause 0x1
	global_load_b128 v[148:151], v[2:3], off offset:32
	global_load_b128 v[152:155], v[2:3], off offset:64
	v_and_b32_e32 v4, 0xffff, v4
	v_add_nc_u32_e32 v9, v9, v11
	s_delay_alu instid0(VALU_DEP_2) | instskip(NEXT) | instid1(VALU_DEP_1)
	v_add_co_u32 v4, s1, s2, v4
	v_add_co_ci_u32_e64 v5, null, s3, 0, s1
	s_clause 0xa
	global_load_b128 v[17:20], v[4:5], off offset:32
	global_load_b128 v[25:28], v[4:5], off offset:64
	global_load_b128 v[45:48], v[0:1], off
	global_load_b128 v[37:40], v[2:3], off
	;; [unrolled: 1-line block ×3, first 2 shown]
	global_load_b128 v[156:159], v[0:1], off offset:16
	global_load_b128 v[60:63], v[0:1], off offset:48
	;; [unrolled: 1-line block ×6, first 2 shown]
	scratch_store_b32 off, v8, off offset:256 ; 4-byte Folded Spill
	v_add_lshl_u32 v8, v212, v9, 4
	s_waitcnt vmcnt(14) lgkmcnt(5)
	v_mul_f64 v[0:1], v[122:123], v[162:163]
	v_mul_f64 v[2:3], v[120:121], v[162:163]
	s_waitcnt vmcnt(13) lgkmcnt(1)
	v_mul_f64 v[4:5], v[124:125], v[166:167]
	v_mul_f64 v[6:7], v[126:127], v[166:167]
	s_clause 0x1
	scratch_store_b128 off, v[160:163], off offset:176
	scratch_store_b128 off, v[164:167], off offset:192
	s_waitcnt vmcnt(12)
	v_mul_f64 v[12:13], v[114:115], v[150:151]
	v_mul_f64 v[14:15], v[112:113], v[150:151]
	s_waitcnt vmcnt(11) lgkmcnt(0)
	v_mul_f64 v[132:133], v[116:117], v[154:155]
	v_mul_f64 v[134:135], v[118:119], v[154:155]
	s_waitcnt vmcnt(10)
	v_mul_f64 v[136:137], v[78:79], v[19:20]
	v_mul_f64 v[138:139], v[76:77], v[19:20]
	s_waitcnt vmcnt(9)
	;; [unrolled: 3-line block ×3, first 2 shown]
	v_mul_f64 v[144:145], v[110:111], v[47:48]
	v_mul_f64 v[146:147], v[108:109], v[47:48]
	scratch_store_b128 off, v[148:151], off offset:128 ; 16-byte Folded Spill
	s_waitcnt vmcnt(5)
	s_clause 0x1
	scratch_store_b128 off, v[156:159], off offset:112
	scratch_store_b128 off, v[152:155], off offset:144
	s_waitcnt vmcnt(1)
	v_mul_f64 v[150:151], v[64:65], v[35:36]
	s_waitcnt vmcnt(0)
	v_mul_f64 v[154:155], v[52:53], v[31:32]
	s_clause 0x8
	scratch_store_b128 off, v[17:20], off offset:408
	scratch_store_b128 off, v[21:24], off offset:424
	;; [unrolled: 1-line block ×9, first 2 shown]
	v_fma_f64 v[0:1], v[120:121], v[160:161], -v[0:1]
	v_fma_f64 v[2:3], v[122:123], v[160:161], v[2:3]
	v_fma_f64 v[4:5], v[126:127], v[164:165], v[4:5]
	v_fma_f64 v[6:7], v[124:125], v[164:165], -v[6:7]
	v_mul_f64 v[120:121], v[106:107], v[39:40]
	v_mul_f64 v[122:123], v[104:105], v[39:40]
	v_fma_f64 v[12:13], v[112:113], v[148:149], -v[12:13]
	v_fma_f64 v[14:15], v[114:115], v[148:149], v[14:15]
	v_fma_f64 v[112:113], v[118:119], v[152:153], v[132:133]
	v_fma_f64 v[114:115], v[116:117], v[152:153], -v[134:135]
	v_mul_f64 v[116:117], v[74:75], v[23:24]
	v_mul_f64 v[118:119], v[72:73], v[23:24]
	;; [unrolled: 6-line block ×3, first 2 shown]
	v_mul_f64 v[132:133], v[102:103], v[62:63]
	v_mul_f64 v[134:135], v[100:101], v[62:63]
	v_fma_f64 v[108:109], v[108:109], v[45:46], -v[144:145]
	v_fma_f64 v[110:111], v[110:111], v[45:46], v[146:147]
	v_mul_f64 v[140:141], v[90:91], v[58:59]
	v_mul_f64 v[142:143], v[88:89], v[58:59]
	;; [unrolled: 1-line block ×6, first 2 shown]
	v_fma_f64 v[66:67], v[66:67], v[33:34], v[150:151]
	v_fma_f64 v[54:55], v[54:55], v[29:30], v[154:155]
	v_add_f64 v[136:137], v[2:3], v[4:5]
	v_add_f64 v[138:139], v[0:1], v[6:7]
	v_fma_f64 v[104:105], v[104:105], v[37:38], -v[120:121]
	v_fma_f64 v[106:107], v[106:107], v[37:38], v[122:123]
	v_add_f64 v[120:121], v[14:15], v[112:113]
	v_add_f64 v[122:123], v[12:13], v[114:115]
	v_fma_f64 v[72:73], v[72:73], v[21:22], -v[116:117]
	;; [unrolled: 4-line block ×3, first 2 shown]
	v_fma_f64 v[98:99], v[98:99], v[156:157], v[130:131]
	v_fma_f64 v[100:101], v[100:101], v[60:61], -v[132:133]
	v_fma_f64 v[102:103], v[102:103], v[60:61], v[134:135]
	v_add_f64 v[130:131], v[0:1], -v[6:7]
	v_add_f64 v[128:129], v[2:3], -v[4:5]
	v_fma_f64 v[88:89], v[88:89], v[56:57], -v[140:141]
	v_fma_f64 v[90:91], v[90:91], v[56:57], v[142:143]
	v_fma_f64 v[92:93], v[92:93], v[41:42], -v[144:145]
	v_fma_f64 v[64:65], v[64:65], v[33:34], -v[148:149]
	;; [unrolled: 1-line block ×3, first 2 shown]
	v_add_f64 v[140:141], v[78:79], -v[124:125]
	v_add_f64 v[142:143], v[76:77], -v[126:127]
	v_fma_f64 v[94:95], v[94:95], v[41:42], v[146:147]
	v_add_f64 v[0:1], v[108:109], v[0:1]
	v_add_f64 v[2:3], v[110:111], v[2:3]
	v_fma_f64 v[132:133], v[136:137], -0.5, v[110:111]
	v_fma_f64 v[134:135], v[138:139], -0.5, v[108:109]
	v_add_f64 v[136:137], v[14:15], -v[112:113]
	v_add_f64 v[138:139], v[12:13], -v[114:115]
	v_add_f64 v[12:13], v[104:105], v[12:13]
	v_add_f64 v[14:15], v[106:107], v[14:15]
	v_fma_f64 v[120:121], v[120:121], -0.5, v[106:107]
	v_fma_f64 v[122:123], v[122:123], -0.5, v[104:105]
	v_add_f64 v[106:107], v[70:71], v[66:67]
	v_fma_f64 v[116:117], v[116:117], -0.5, v[74:75]
	v_fma_f64 v[118:119], v[118:119], -0.5, v[72:73]
	v_add_f64 v[72:73], v[72:73], v[76:77]
	v_add_f64 v[74:75], v[74:75], v[78:79]
	;; [unrolled: 1-line block ×4, first 2 shown]
	v_add_f64 v[78:79], v[96:97], -v[100:101]
	v_add_f64 v[108:109], v[80:81], v[88:89]
	v_add_f64 v[110:111], v[82:83], v[90:91]
	;; [unrolled: 1-line block ×3, first 2 shown]
	v_fma_f64 v[148:149], v[130:131], s[8:9], v[132:133]
	v_fma_f64 v[130:131], v[130:131], s[6:7], v[132:133]
	v_add_f64 v[132:133], v[88:89], v[92:93]
	v_fma_f64 v[150:151], v[128:129], s[8:9], v[134:135]
	v_fma_f64 v[128:129], v[128:129], s[6:7], v[134:135]
	v_add_f64 v[134:135], v[90:91], v[94:95]
	v_add_f64 v[88:89], v[88:89], -v[92:93]
	v_add_f64 v[12:13], v[12:13], v[114:115]
	v_add_f64 v[14:15], v[14:15], v[112:113]
	v_fma_f64 v[152:153], v[138:139], s[8:9], v[120:121]
	v_fma_f64 v[154:155], v[136:137], s[8:9], v[122:123]
	;; [unrolled: 1-line block ×4, first 2 shown]
	v_add_f64 v[136:137], v[64:65], v[52:53]
	v_add_f64 v[138:139], v[66:67], v[54:55]
	v_fma_f64 v[156:157], v[142:143], s[8:9], v[116:117]
	v_fma_f64 v[158:159], v[140:141], s[8:9], v[118:119]
	;; [unrolled: 1-line block ×4, first 2 shown]
	v_add_f64 v[140:141], v[84:85], v[96:97]
	v_add_f64 v[142:143], v[98:99], -v[102:103]
	v_add_f64 v[98:99], v[86:87], v[98:99]
	v_fma_f64 v[76:77], v[144:145], -0.5, v[84:85]
	v_fma_f64 v[84:85], v[146:147], -0.5, v[86:87]
	v_add_f64 v[66:67], v[66:67], -v[54:55]
	v_add_f64 v[64:65], v[64:65], -v[52:53]
	;; [unrolled: 1-line block ×3, first 2 shown]
	v_add_f64 v[92:93], v[108:109], v[92:93]
	v_add_f64 v[94:95], v[110:111], v[94:95]
	v_mul_f64 v[90:91], v[148:149], s[6:7]
	v_mul_f64 v[146:147], v[130:131], -0.5
	v_fma_f64 v[80:81], v[132:133], -0.5, v[80:81]
	v_mul_f64 v[96:97], v[150:151], -0.5
	v_mul_f64 v[144:145], v[128:129], s[8:9]
	v_fma_f64 v[82:83], v[134:135], -0.5, v[82:83]
	v_mul_f64 v[132:133], v[152:153], s[6:7]
	v_mul_f64 v[134:135], v[154:155], -0.5
	v_mul_f64 v[160:161], v[122:123], s[8:9]
	v_mul_f64 v[162:163], v[120:121], -0.5
	v_fma_f64 v[68:69], v[136:137], -0.5, v[68:69]
	v_fma_f64 v[70:71], v[138:139], -0.5, v[70:71]
	v_mul_f64 v[136:137], v[156:157], s[6:7]
	v_mul_f64 v[138:139], v[158:159], -0.5
	v_mul_f64 v[166:167], v[116:117], -0.5
	v_mul_f64 v[164:165], v[118:119], s[8:9]
	v_add_f64 v[100:101], v[140:141], v[100:101]
	v_add_f64 v[140:141], v[2:3], v[4:5]
	;; [unrolled: 1-line block ×8, first 2 shown]
	v_fma_f64 v[104:105], v[142:143], s[6:7], v[76:77]
	v_fma_f64 v[106:107], v[142:143], s[8:9], v[76:77]
	;; [unrolled: 1-line block ×4, first 2 shown]
	v_add_f64 v[72:73], v[92:93], -v[12:13]
	v_add_f64 v[74:75], v[94:95], -v[14:15]
	v_fma_f64 v[84:85], v[128:129], 0.5, v[90:91]
	v_fma_f64 v[124:125], v[150:151], s[8:9], v[146:147]
	v_fma_f64 v[126:127], v[86:87], s[6:7], v[80:81]
	;; [unrolled: 1-line block ×3, first 2 shown]
	v_fma_f64 v[96:97], v[148:149], 0.5, v[144:145]
	v_fma_f64 v[128:129], v[86:87], s[8:9], v[80:81]
	v_fma_f64 v[142:143], v[88:89], s[6:7], v[82:83]
	;; [unrolled: 1-line block ×3, first 2 shown]
	v_fma_f64 v[122:123], v[122:123], 0.5, v[132:133]
	v_fma_f64 v[120:121], v[120:121], s[6:7], v[134:135]
	v_fma_f64 v[132:133], v[152:153], 0.5, v[160:161]
	v_fma_f64 v[134:135], v[154:155], s[8:9], v[162:163]
	v_fma_f64 v[146:147], v[66:67], s[8:9], v[68:69]
	;; [unrolled: 1-line block ×3, first 2 shown]
	v_fma_f64 v[118:119], v[118:119], 0.5, v[136:137]
	v_fma_f64 v[136:137], v[116:117], s[6:7], v[138:139]
	v_fma_f64 v[152:153], v[158:159], s[8:9], v[166:167]
	;; [unrolled: 1-line block ×4, first 2 shown]
	v_fma_f64 v[138:139], v[156:157], 0.5, v[164:165]
	v_add_f64 v[68:69], v[92:93], v[12:13]
	v_add_f64 v[70:71], v[94:95], v[14:15]
	;; [unrolled: 1-line block ×4, first 2 shown]
	v_add_f64 v[64:65], v[100:101], -v[102:103]
	v_add_f64 v[112:113], v[0:1], -v[2:3]
	;; [unrolled: 1-line block ×4, first 2 shown]
	s_load_b128 s[4:7], s[4:5], 0x0
	v_add_f64 v[76:77], v[104:105], v[84:85]
	v_add_f64 v[82:83], v[110:111], v[124:125]
	v_add_f64 v[84:85], v[104:105], -v[84:85]
	v_add_f64 v[80:81], v[106:107], v[90:91]
	v_add_f64 v[78:79], v[108:109], v[96:97]
	v_add_f64 v[88:89], v[106:107], -v[90:91]
	v_add_f64 v[86:87], v[108:109], -v[96:97]
	v_add_f64 v[90:91], v[110:111], -v[124:125]
	v_add_f64 v[92:93], v[126:127], v[122:123]
	v_add_f64 v[96:97], v[128:129], v[120:121]
	v_add_f64 v[100:101], v[126:127], -v[122:123]
	v_add_f64 v[104:105], v[128:129], -v[120:121]
	;; [unrolled: 5-line block ×3, first 2 shown]
	v_add_f64 v[124:125], v[144:145], v[118:119]
	v_add_f64 v[120:121], v[146:147], v[136:137]
	;; [unrolled: 1-line block ×4, first 2 shown]
	v_add_f64 v[116:117], v[144:145], -v[118:119]
	v_add_f64 v[118:119], v[148:149], -v[138:139]
	;; [unrolled: 1-line block ×3, first 2 shown]
	s_clause 0x1
	scratch_store_b128 off, v[37:40], off offset:32
	scratch_store_b128 off, v[12:15], off offset:16
	v_and_b32_e32 v12, 0xffff, v16
	s_waitcnt lgkmcnt(0)
	s_waitcnt_vscnt null, 0x0
	s_barrier
	buffer_gl0_inv
	v_mul_u32_u24_e32 v12, 0x66, v12
	s_delay_alu instid0(VALU_DEP_1) | instskip(NEXT) | instid1(VALU_DEP_1)
	v_add_nc_u32_e32 v10, v12, v10
	v_add_lshl_u32 v10, v212, v10, 4
	ds_store_b128 v10, v[52:55]
	ds_store_b128 v10, v[76:79] offset:272
	ds_store_b128 v10, v[80:83] offset:544
	;; [unrolled: 1-line block ×4, first 2 shown]
	scratch_store_b32 off, v10, off offset:304 ; 4-byte Folded Spill
	ds_store_b128 v10, v[88:91] offset:1360
	ds_store_b128 v8, v[68:71]
	ds_store_b128 v8, v[92:95] offset:272
	ds_store_b128 v8, v[96:99] offset:544
	;; [unrolled: 1-line block ×4, first 2 shown]
	scratch_store_b32 off, v8, off offset:296 ; 4-byte Folded Spill
	ds_store_b128 v8, v[104:107] offset:1360
	s_and_saveexec_b32 s1, s0
	s_cbranch_execz .LBB0_11
; %bb.10:
	v_add_f64 v[2:3], v[0:1], v[2:3]
	scratch_load_b32 v0, off, off offset:256 ; 4-byte Folded Reload
	v_add_f64 v[4:5], v[4:5], v[6:7]
	s_waitcnt vmcnt(0)
	v_add_lshl_u32 v0, v212, v0, 4
	ds_store_b128 v0, v[120:123] offset:20128
	ds_store_b128 v0, v[112:115] offset:20400
	;; [unrolled: 1-line block ×5, first 2 shown]
	scratch_load_b128 v[1:4], off, off offset:16 ; 16-byte Folded Reload
	s_waitcnt vmcnt(0)
	ds_store_b128 v0, v[1:4] offset:20944
.LBB0_11:
	s_or_b32 exec_lo, exec_lo, s1
	scratch_load_b32 v254, off, off         ; 4-byte Folded Reload
	s_waitcnt vmcnt(0) lgkmcnt(0)
	s_waitcnt_vscnt null, 0x0
	s_barrier
	buffer_gl0_inv
	s_mov_b32 s22, 0x2ef20147
	s_mov_b32 s23, 0xbfedeba7
	s_mov_b32 s10, 0xb2365da1
	s_mov_b32 s26, 0x24c2f84
	s_mov_b32 s25, 0xbfddbe06
	s_mov_b32 s24, 0x4267c47c
	s_mov_b32 s11, 0xbfd6b1d8
	s_mov_b32 s27, 0xbfe5384d
	s_mov_b32 s20, 0xe00740e9
	s_mov_b32 s8, 0xd0032e0c
	s_mov_b32 s21, 0x3fec55a7
	s_mov_b32 s9, 0xbfe7f3cc
	s_mov_b32 s28, 0x42a4c3d2
	s_mov_b32 s30, 0x66966769
	s_mov_b32 s34, 0x4bc48dbf
	s_mov_b32 s29, 0xbfea55e2
	s_mov_b32 s31, 0xbfefc445
	s_mov_b32 s35, 0xbfcea1e5
	s_mov_b32 s16, 0x1ea71119
	s_mov_b32 s18, 0xebaa3ed8
	s_mov_b32 s17, 0x3fe22d96
	s_mov_b32 s19, 0x3fbedb7d
	s_mov_b32 s39, 0x3fe5384d
	s_mov_b32 s38, s26
	s_mov_b32 s37, 0x3fefc445
	s_mov_b32 s36, s30
	s_mov_b32 s41, 0x3fedeba7
	s_mov_b32 s40, s22
	v_mad_u64_u32 v[108:109], null, 0xc0, v254, s[2:3]
	s_mov_b32 s2, 0x93053d00
	s_mov_b32 s3, 0xbfef11f4
	s_clause 0x5
	global_load_b128 v[16:19], v[108:109], off offset:1360
	global_load_b128 v[20:23], v[108:109], off offset:1536
	;; [unrolled: 1-line block ×6, first 2 shown]
	ds_load_b128 v[0:3], v255 offset:1632
	ds_load_b128 v[4:7], v255 offset:19584
	ds_load_b128 v[132:135], v255
	ds_load_b128 v[8:11], v255 offset:3264
	ds_load_b128 v[92:95], v255 offset:4896
	;; [unrolled: 1-line block ×3, first 2 shown]
	s_waitcnt vmcnt(5) lgkmcnt(5)
	v_mul_f64 v[14:15], v[2:3], v[18:19]
	v_mul_f64 v[76:77], v[0:1], v[18:19]
	scratch_store_b128 off, v[16:19], off offset:160 ; 16-byte Folded Spill
	s_waitcnt vmcnt(4)
	scratch_store_b128 off, v[20:23], off offset:208 ; 16-byte Folded Spill
	s_waitcnt lgkmcnt(4)
	v_mul_f64 v[78:79], v[4:5], v[22:23]
	v_mul_f64 v[100:101], v[6:7], v[22:23]
	s_waitcnt vmcnt(3) lgkmcnt(2)
	v_mul_f64 v[106:107], v[8:9], v[26:27]
	v_mul_f64 v[104:105], v[10:11], v[26:27]
	scratch_store_b128 off, v[24:27], off offset:224 ; 16-byte Folded Spill
	s_waitcnt vmcnt(2)
	scratch_store_b128 off, v[28:31], off offset:240 ; 16-byte Folded Spill
	s_waitcnt vmcnt(1)
	;; [unrolled: 2-line block ×3, first 2 shown]
	scratch_store_b128 off, v[36:39], off offset:280 ; 16-byte Folded Spill
	v_fma_f64 v[14:15], v[0:1], v[16:17], -v[14:15]
	v_fma_f64 v[144:145], v[2:3], v[16:17], v[76:77]
	global_load_b128 v[16:19], v[108:109], off offset:1408
	v_fma_f64 v[0:1], v[6:7], v[20:21], v[78:79]
	v_fma_f64 v[2:3], v[4:5], v[20:21], -v[100:101]
	global_load_b128 v[20:23], v[108:109], off offset:1488
	v_fma_f64 v[78:79], v[10:11], v[24:25], v[106:107]
	s_waitcnt lgkmcnt(1)
	v_mul_f64 v[10:11], v[92:93], v[34:35]
	ds_load_b128 v[100:103], v255 offset:16320
	s_waitcnt lgkmcnt(1)
	v_mul_f64 v[4:5], v[96:97], v[30:31]
	v_mul_f64 v[6:7], v[98:99], v[30:31]
	v_fma_f64 v[76:77], v[8:9], v[24:25], -v[104:105]
	v_mul_f64 v[8:9], v[94:95], v[34:35]
	v_add_f64 v[12:13], v[132:133], v[14:15]
	v_add_f64 v[170:171], v[144:145], v[0:1]
	;; [unrolled: 1-line block ×3, first 2 shown]
	v_fma_f64 v[130:131], v[94:95], v[32:33], v[10:11]
	s_waitcnt lgkmcnt(0)
	v_mul_f64 v[10:11], v[102:103], v[38:39]
	v_fma_f64 v[4:5], v[98:99], v[28:29], v[4:5]
	v_fma_f64 v[6:7], v[96:97], v[28:29], -v[6:7]
	ds_load_b128 v[96:99], v255 offset:6528
	ds_load_b128 v[104:107], v255 offset:8160
	v_fma_f64 v[128:129], v[92:93], v[32:33], -v[8:9]
	v_mul_f64 v[8:9], v[100:101], v[38:39]
	v_fma_f64 v[10:11], v[100:101], v[36:37], -v[10:11]
	v_add_f64 v[230:231], v[76:77], -v[6:7]
	s_delay_alu instid0(VALU_DEP_3) | instskip(NEXT) | instid1(VALU_DEP_3)
	v_fma_f64 v[8:9], v[102:103], v[36:37], v[8:9]
	v_add_f64 v[242:243], v[128:129], -v[10:11]
	s_delay_alu instid0(VALU_DEP_3) | instskip(NEXT) | instid1(VALU_DEP_3)
	v_mul_f64 v[58:59], v[230:231], s[38:39]
	v_add_f64 v[232:233], v[130:131], -v[8:9]
	s_delay_alu instid0(VALU_DEP_3)
	v_mul_f64 v[36:37], v[242:243], s[34:35]
	v_mul_f64 v[82:83], v[242:243], s[28:29]
	s_waitcnt vmcnt(1) lgkmcnt(1)
	v_mul_f64 v[100:101], v[96:97], v[18:19]
	scratch_store_b128 off, v[16:19], off offset:312 ; 16-byte Folded Spill
	v_fma_f64 v[184:185], v[98:99], v[16:17], v[100:101]
	v_mul_f64 v[98:99], v[98:99], v[18:19]
	s_delay_alu instid0(VALU_DEP_1)
	v_fma_f64 v[186:187], v[96:97], v[16:17], -v[98:99]
	ds_load_b128 v[96:99], v255 offset:14688
	ds_load_b128 v[136:139], v255 offset:13056
	s_waitcnt vmcnt(0)
	scratch_store_b128 off, v[20:23], off offset:328 ; 16-byte Folded Spill
	s_waitcnt lgkmcnt(1)
	v_mul_f64 v[100:101], v[96:97], v[22:23]
	s_delay_alu instid0(VALU_DEP_1) | instskip(SKIP_1) | instid1(VALU_DEP_2)
	v_fma_f64 v[180:181], v[98:99], v[20:21], v[100:101]
	v_mul_f64 v[98:99], v[98:99], v[22:23]
	v_add_f64 v[244:245], v[184:185], -v[180:181]
	s_delay_alu instid0(VALU_DEP_2)
	v_fma_f64 v[182:183], v[96:97], v[20:21], -v[98:99]
	s_clause 0x1
	global_load_b128 v[100:103], v[108:109], off offset:1424
	global_load_b128 v[96:99], v[108:109], off offset:1440
	v_add_f64 v[248:249], v[184:185], v[180:181]
	v_mul_f64 v[228:229], v[244:245], s[22:23]
	v_add_f64 v[246:247], v[186:187], -v[182:183]
	v_mul_f64 v[40:41], v[244:245], s[38:39]
	v_mul_f64 v[64:65], v[244:245], s[30:31]
	s_delay_alu instid0(VALU_DEP_3) | instskip(SKIP_1) | instid1(VALU_DEP_1)
	v_mul_f64 v[250:251], v[246:247], s[22:23]
	v_mul_f64 v[44:45], v[246:247], s[38:39]
	v_fma_f64 v[46:47], v[248:249], s[8:9], v[44:45]
	s_waitcnt vmcnt(1)
	v_mul_f64 v[110:111], v[106:107], v[102:103]
	s_delay_alu instid0(VALU_DEP_1) | instskip(SKIP_1) | instid1(VALU_DEP_1)
	v_fma_f64 v[188:189], v[104:105], v[100:101], -v[110:111]
	v_mul_f64 v[104:105], v[104:105], v[102:103]
	v_fma_f64 v[190:191], v[106:107], v[100:101], v[104:105]
	ds_load_b128 v[104:107], v255 offset:9792
	ds_load_b128 v[140:143], v255 offset:11424
	s_waitcnt vmcnt(0) lgkmcnt(1)
	v_mul_f64 v[110:111], v[106:107], v[98:99]
	s_delay_alu instid0(VALU_DEP_1) | instskip(SKIP_1) | instid1(VALU_DEP_1)
	v_fma_f64 v[192:193], v[104:105], v[96:97], -v[110:111]
	v_mul_f64 v[104:105], v[104:105], v[98:99]
	v_fma_f64 v[194:195], v[106:107], v[96:97], v[104:105]
	s_clause 0x1
	global_load_b128 v[104:107], v[108:109], off offset:1456
	global_load_b128 v[108:111], v[108:109], off offset:1472
	scratch_store_b64 off, v[12:13], off offset:344 ; 8-byte Folded Spill
	v_add_f64 v[12:13], v[134:135], v[144:145]
	scratch_store_b64 off, v[12:13], off offset:352 ; 8-byte Folded Spill
	s_waitcnt vmcnt(1) lgkmcnt(0)
	v_mul_f64 v[146:147], v[142:143], v[106:107]
	s_delay_alu instid0(VALU_DEP_1) | instskip(SKIP_1) | instid1(VALU_DEP_2)
	v_fma_f64 v[196:197], v[140:141], v[104:105], -v[146:147]
	v_mul_f64 v[140:141], v[140:141], v[106:107]
	v_add_f64 v[26:27], v[192:193], v[196:197]
	s_delay_alu instid0(VALU_DEP_2) | instskip(SKIP_2) | instid1(VALU_DEP_2)
	v_fma_f64 v[198:199], v[142:143], v[104:105], v[140:141]
	s_waitcnt vmcnt(0)
	v_mul_f64 v[140:141], v[138:139], v[110:111]
	v_add_f64 v[24:25], v[194:195], -v[198:199]
	s_delay_alu instid0(VALU_DEP_2) | instskip(SKIP_1) | instid1(VALU_DEP_3)
	v_fma_f64 v[200:201], v[136:137], v[108:109], -v[140:141]
	v_mul_f64 v[136:137], v[136:137], v[110:111]
	v_mul_f64 v[28:29], v[24:25], s[34:35]
	s_delay_alu instid0(VALU_DEP_3) | instskip(NEXT) | instid1(VALU_DEP_3)
	v_add_f64 v[16:17], v[188:189], v[200:201]
	v_fma_f64 v[202:203], v[138:139], v[108:109], v[136:137]
	v_add_f64 v[136:137], v[144:145], -v[0:1]
	v_mul_f64 v[92:93], v[24:25], s[22:23]
	v_fma_f64 v[30:31], v[26:27], s[2:3], v[28:29]
	s_delay_alu instid0(VALU_DEP_4) | instskip(NEXT) | instid1(VALU_DEP_4)
	v_add_f64 v[252:253], v[190:191], -v[202:203]
	v_mul_f64 v[146:147], v[136:137], s[22:23]
	v_mul_f64 v[138:139], v[136:137], s[24:25]
	;; [unrolled: 1-line block ×6, first 2 shown]
	v_add_f64 v[20:21], v[190:191], v[202:203]
	v_fma_f64 v[94:95], v[26:27], s[10:11], -v[92:93]
	v_mul_f64 v[18:19], v[252:253], s[26:27]
	v_fma_f64 v[158:159], v[150:151], s[10:11], -v[146:147]
	v_fma_f64 v[160:161], v[150:151], s[10:11], v[146:147]
	v_add_f64 v[146:147], v[14:15], -v[2:3]
	v_fma_f64 v[152:153], v[150:151], s[20:21], -v[138:139]
	v_fma_f64 v[162:163], v[150:151], s[8:9], -v[148:149]
	v_fma_f64 v[208:209], v[150:151], s[8:9], v[148:149]
	v_fma_f64 v[138:139], v[150:151], s[20:21], v[138:139]
	v_fma_f64 v[154:155], v[150:151], s[16:17], -v[140:141]
	v_fma_f64 v[140:141], v[150:151], s[16:17], v[140:141]
	v_fma_f64 v[156:157], v[150:151], s[18:19], -v[142:143]
	;; [unrolled: 2-line block ×3, first 2 shown]
	v_fma_f64 v[136:137], v[150:151], s[2:3], v[136:137]
	v_mul_f64 v[148:149], v[146:147], s[24:25]
	v_add_f64 v[12:13], v[132:133], v[152:153]
	v_mul_f64 v[150:151], v[146:147], s[28:29]
	v_mul_f64 v[168:169], v[146:147], s[26:27]
	;; [unrolled: 1-line block ×4, first 2 shown]
	v_add_f64 v[14:15], v[132:133], v[138:139]
	v_mul_f64 v[146:147], v[146:147], s[34:35]
	v_add_f64 v[234:235], v[132:133], v[154:155]
	v_add_f64 v[154:155], v[132:133], v[210:211]
	;; [unrolled: 1-line block ×3, first 2 shown]
	s_mov_b32 s25, 0x3fddbe06
	s_delay_alu instid0(SALU_CYCLE_1)
	v_mul_f64 v[60:61], v[232:233], s[24:25]
	v_mul_f64 v[88:89], v[252:253], s[24:25]
	v_fma_f64 v[172:173], v[170:171], s[20:21], v[148:149]
	scratch_store_b64 off, v[12:13], off offset:360 ; 8-byte Folded Spill
	v_fma_f64 v[148:149], v[170:171], s[20:21], -v[148:149]
	v_fma_f64 v[174:175], v[170:171], s[16:17], v[150:151]
	v_fma_f64 v[150:151], v[170:171], s[16:17], -v[150:151]
	v_fma_f64 v[220:221], v[170:171], s[8:9], v[168:169]
	v_fma_f64 v[212:213], v[170:171], s[18:19], v[164:165]
	v_fma_f64 v[214:215], v[170:171], s[18:19], -v[164:165]
	v_fma_f64 v[216:217], v[170:171], s[10:11], v[166:167]
	v_fma_f64 v[218:219], v[170:171], s[10:11], -v[166:167]
	v_fma_f64 v[222:223], v[170:171], s[8:9], -v[168:169]
	v_fma_f64 v[224:225], v[170:171], s[2:3], v[146:147]
	v_fma_f64 v[226:227], v[170:171], s[2:3], -v[146:147]
	v_add_f64 v[146:147], v[132:133], v[158:159]
	v_add_f64 v[170:171], v[132:133], v[160:161]
	v_add_f64 v[158:159], v[132:133], v[136:137]
	v_fma_f64 v[90:91], v[16:17], s[20:21], -v[88:89]
	v_add_f64 v[12:13], v[134:135], v[172:173]
	v_add_f64 v[138:139], v[134:135], v[148:149]
	;; [unrolled: 1-line block ×4, first 2 shown]
	v_add_f64 v[220:221], v[78:79], -v[4:5]
	v_add_f64 v[240:241], v[134:135], v[212:213]
	v_add_f64 v[144:145], v[134:135], v[216:217]
	;; [unrolled: 1-line block ×5, first 2 shown]
	v_mul_f64 v[218:219], v[232:233], s[30:31]
	v_add_f64 v[160:161], v[134:135], v[222:223]
	v_add_f64 v[152:153], v[134:135], v[224:225]
	v_add_f64 v[156:157], v[134:135], v[226:227]
	v_add_f64 v[222:223], v[130:131], v[8:9]
	v_mul_f64 v[224:225], v[242:243], s[30:31]
	v_add_f64 v[226:227], v[186:187], v[182:183]
	scratch_store_b64 off, v[12:13], off offset:368 ; 8-byte Folded Spill
	v_add_f64 v[12:13], v[132:133], v[140:141]
	v_mul_f64 v[210:211], v[220:221], s[28:29]
	v_fma_f64 v[62:63], v[216:217], s[20:21], -v[60:61]
	v_fma_f64 v[38:39], v[222:223], s[2:3], v[36:37]
	v_fma_f64 v[42:43], v[226:227], s[8:9], -v[40:41]
	v_fma_f64 v[66:67], v[226:227], s[18:19], -v[64:65]
	scratch_store_b64 off, v[12:13], off offset:384 ; 8-byte Folded Spill
	v_add_f64 v[12:13], v[134:135], v[150:151]
	v_add_f64 v[150:151], v[132:133], v[162:163]
	;; [unrolled: 1-line block ×4, first 2 shown]
	scratch_store_b64 off, v[12:13], off offset:376 ; 8-byte Folded Spill
	v_add_f64 v[12:13], v[132:133], v[142:143]
	v_fma_f64 v[132:133], v[208:209], s[16:17], v[210:211]
	scratch_store_b64 off, v[12:13], off offset:400 ; 8-byte Folded Spill
	v_add_f64 v[12:13], v[134:135], v[214:215]
	v_mul_f64 v[214:215], v[230:231], s[28:29]
	v_add_f64 v[14:15], v[132:133], v[14:15]
	v_fma_f64 v[134:135], v[216:217], s[18:19], v[218:219]
	scratch_store_b64 off, v[12:13], off offset:392 ; 8-byte Folded Spill
	v_fma_f64 v[132:133], v[212:213], s[16:17], -v[214:215]
	v_add_f64 v[12:13], v[188:189], -v[200:201]
	v_add_f64 v[14:15], v[134:135], v[14:15]
	v_fma_f64 v[134:135], v[222:223], s[18:19], -v[224:225]
	s_delay_alu instid0(VALU_DEP_4) | instskip(NEXT) | instid1(VALU_DEP_4)
	v_add_f64 v[132:133], v[132:133], v[138:139]
	v_mul_f64 v[22:23], v[12:13], s[26:27]
	v_mul_f64 v[48:49], v[12:13], s[36:37]
	s_delay_alu instid0(VALU_DEP_3) | instskip(SKIP_1) | instid1(VALU_DEP_3)
	v_add_f64 v[132:133], v[134:135], v[132:133]
	v_fma_f64 v[134:135], v[226:227], s[10:11], v[228:229]
	v_fma_f64 v[50:51], v[20:21], s[18:19], v[48:49]
	s_delay_alu instid0(VALU_DEP_2) | instskip(SKIP_1) | instid1(VALU_DEP_1)
	v_add_f64 v[14:15], v[134:135], v[14:15]
	v_fma_f64 v[134:135], v[248:249], s[10:11], -v[250:251]
	v_add_f64 v[132:133], v[134:135], v[132:133]
	v_fma_f64 v[134:135], v[16:17], s[8:9], v[18:19]
	s_delay_alu instid0(VALU_DEP_1) | instskip(SKIP_1) | instid1(VALU_DEP_2)
	v_add_f64 v[14:15], v[134:135], v[14:15]
	v_fma_f64 v[134:135], v[20:21], s[8:9], -v[22:23]
	v_add_f64 v[140:141], v[30:31], v[14:15]
	v_add_f64 v[14:15], v[192:193], -v[196:197]
	v_add_f64 v[30:31], v[194:195], v[198:199]
	s_delay_alu instid0(VALU_DEP_4) | instskip(NEXT) | instid1(VALU_DEP_3)
	v_add_f64 v[132:133], v[134:135], v[132:133]
	v_mul_f64 v[32:33], v[14:15], s[34:35]
	s_delay_alu instid0(VALU_DEP_1) | instskip(NEXT) | instid1(VALU_DEP_1)
	v_fma_f64 v[34:35], v[30:31], s[2:3], -v[32:33]
	v_add_f64 v[142:143], v[34:35], v[132:133]
	v_mul_f64 v[34:35], v[220:221], s[22:23]
	s_delay_alu instid0(VALU_DEP_1) | instskip(NEXT) | instid1(VALU_DEP_1)
	v_fma_f64 v[132:133], v[208:209], s[10:11], -v[34:35]
	v_add_f64 v[132:133], v[132:133], v[234:235]
	v_mul_f64 v[234:235], v[230:231], s[22:23]
	s_delay_alu instid0(VALU_DEP_1) | instskip(NEXT) | instid1(VALU_DEP_1)
	v_fma_f64 v[134:135], v[212:213], s[10:11], v[234:235]
	v_add_f64 v[134:135], v[134:135], v[236:237]
	v_mul_f64 v[236:237], v[232:233], s[34:35]
	s_delay_alu instid0(VALU_DEP_2) | instskip(NEXT) | instid1(VALU_DEP_2)
	v_add_f64 v[38:39], v[38:39], v[134:135]
	v_fma_f64 v[136:137], v[216:217], s[2:3], -v[236:237]
	s_delay_alu instid0(VALU_DEP_2) | instskip(NEXT) | instid1(VALU_DEP_2)
	v_add_f64 v[38:39], v[46:47], v[38:39]
	v_add_f64 v[132:133], v[136:137], v[132:133]
	v_mul_f64 v[46:47], v[252:253], s[36:37]
	s_delay_alu instid0(VALU_DEP_3) | instskip(NEXT) | instid1(VALU_DEP_3)
	v_add_f64 v[38:39], v[50:51], v[38:39]
	v_add_f64 v[42:43], v[42:43], v[132:133]
	s_delay_alu instid0(VALU_DEP_3) | instskip(SKIP_1) | instid1(VALU_DEP_2)
	v_fma_f64 v[132:133], v[16:17], s[18:19], -v[46:47]
	v_mul_f64 v[50:51], v[24:25], s[24:25]
	v_add_f64 v[42:43], v[132:133], v[42:43]
	s_delay_alu instid0(VALU_DEP_2) | instskip(NEXT) | instid1(VALU_DEP_1)
	v_fma_f64 v[132:133], v[26:27], s[20:21], -v[50:51]
	v_add_f64 v[132:133], v[132:133], v[42:43]
	v_mul_f64 v[42:43], v[14:15], s[24:25]
	s_delay_alu instid0(VALU_DEP_1) | instskip(NEXT) | instid1(VALU_DEP_1)
	v_fma_f64 v[134:135], v[30:31], s[20:21], v[42:43]
	v_add_f64 v[134:135], v[134:135], v[38:39]
	v_mul_f64 v[38:39], v[220:221], s[34:35]
	s_delay_alu instid0(VALU_DEP_1) | instskip(NEXT) | instid1(VALU_DEP_1)
	v_fma_f64 v[136:137], v[208:209], s[2:3], -v[38:39]
	v_add_f64 v[136:137], v[136:137], v[238:239]
	v_mul_f64 v[238:239], v[230:231], s[34:35]
	s_mov_b32 s35, 0x3fcea1e5
	s_delay_alu instid0(SALU_CYCLE_1) | instskip(SKIP_1) | instid1(VALU_DEP_3)
	v_mul_f64 v[68:69], v[252:253], s[34:35]
	v_mul_f64 v[84:85], v[244:245], s[34:35]
	v_fma_f64 v[138:139], v[212:213], s[2:3], v[238:239]
	s_delay_alu instid0(VALU_DEP_3) | instskip(NEXT) | instid1(VALU_DEP_3)
	v_fma_f64 v[70:71], v[16:17], s[2:3], -v[68:69]
	v_fma_f64 v[86:87], v[226:227], s[2:3], -v[84:85]
	s_delay_alu instid0(VALU_DEP_3) | instskip(SKIP_1) | instid1(VALU_DEP_1)
	v_add_f64 v[138:139], v[138:139], v[240:241]
	v_mul_f64 v[240:241], v[232:233], s[40:41]
	v_fma_f64 v[204:205], v[216:217], s[10:11], -v[240:241]
	s_delay_alu instid0(VALU_DEP_1) | instskip(SKIP_1) | instid1(VALU_DEP_1)
	v_add_f64 v[136:137], v[204:205], v[136:137]
	v_mul_f64 v[204:205], v[242:243], s[40:41]
	v_fma_f64 v[206:207], v[222:223], s[10:11], v[204:205]
	s_delay_alu instid0(VALU_DEP_1) | instskip(SKIP_1) | instid1(VALU_DEP_1)
	v_add_f64 v[138:139], v[206:207], v[138:139]
	v_mul_f64 v[206:207], v[244:245], s[24:25]
	v_fma_f64 v[164:165], v[226:227], s[20:21], -v[206:207]
	s_delay_alu instid0(VALU_DEP_1) | instskip(SKIP_1) | instid1(VALU_DEP_1)
	v_add_f64 v[136:137], v[164:165], v[136:137]
	v_mul_f64 v[164:165], v[246:247], s[24:25]
	v_fma_f64 v[166:167], v[248:249], s[20:21], v[164:165]
	s_delay_alu instid0(VALU_DEP_1) | instskip(SKIP_1) | instid1(VALU_DEP_1)
	;; [unrolled: 8-line block ×4, first 2 shown]
	v_add_f64 v[138:139], v[54:55], v[138:139]
	v_mul_f64 v[54:55], v[220:221], s[38:39]
	v_fma_f64 v[56:57], v[208:209], s[8:9], -v[54:55]
	s_delay_alu instid0(VALU_DEP_1) | instskip(SKIP_1) | instid1(VALU_DEP_2)
	v_add_f64 v[56:57], v[56:57], v[146:147]
	v_fma_f64 v[146:147], v[212:213], s[8:9], v[58:59]
	v_add_f64 v[56:57], v[62:63], v[56:57]
	v_mul_f64 v[62:63], v[242:243], s[24:25]
	s_delay_alu instid0(VALU_DEP_3) | instskip(NEXT) | instid1(VALU_DEP_3)
	v_add_f64 v[144:145], v[146:147], v[144:145]
	v_add_f64 v[56:57], v[66:67], v[56:57]
	s_delay_alu instid0(VALU_DEP_3) | instskip(SKIP_3) | instid1(SALU_CYCLE_1)
	v_fma_f64 v[146:147], v[222:223], s[20:21], v[62:63]
	v_mul_f64 v[66:67], v[246:247], s[30:31]
	s_mov_b32 s31, 0x3fea55e2
	s_mov_b32 s30, s28
	v_mul_f64 v[72:73], v[24:25], s[30:31]
	v_mul_f64 v[24:25], v[24:25], s[36:37]
	v_add_f64 v[56:57], v[70:71], v[56:57]
	v_add_f64 v[144:145], v[146:147], v[144:145]
	v_fma_f64 v[146:147], v[248:249], s[18:19], v[66:67]
	v_mul_f64 v[70:71], v[12:13], s[34:35]
	v_fma_f64 v[74:75], v[26:27], s[16:17], -v[72:73]
	s_delay_alu instid0(VALU_DEP_3) | instskip(NEXT) | instid1(VALU_DEP_3)
	v_add_f64 v[144:145], v[146:147], v[144:145]
	v_fma_f64 v[146:147], v[20:21], s[2:3], v[70:71]
	s_delay_alu instid0(VALU_DEP_1) | instskip(NEXT) | instid1(VALU_DEP_4)
	v_add_f64 v[146:147], v[146:147], v[144:145]
	v_add_f64 v[144:145], v[74:75], v[56:57]
	v_mul_f64 v[56:57], v[14:15], s[30:31]
	s_delay_alu instid0(VALU_DEP_1) | instskip(NEXT) | instid1(VALU_DEP_1)
	v_fma_f64 v[74:75], v[30:31], s[16:17], v[56:57]
	v_add_f64 v[146:147], v[74:75], v[146:147]
	v_mul_f64 v[74:75], v[220:221], s[36:37]
	s_delay_alu instid0(VALU_DEP_1) | instskip(NEXT) | instid1(VALU_DEP_1)
	v_fma_f64 v[172:173], v[208:209], s[18:19], -v[74:75]
	v_add_f64 v[150:151], v[172:173], v[150:151]
	v_mul_f64 v[172:173], v[230:231], s[36:37]
	s_delay_alu instid0(VALU_DEP_1) | instskip(NEXT) | instid1(VALU_DEP_1)
	v_fma_f64 v[174:175], v[212:213], s[18:19], v[172:173]
	v_add_f64 v[148:149], v[174:175], v[148:149]
	v_mul_f64 v[174:175], v[232:233], s[28:29]
	s_delay_alu instid0(VALU_DEP_1) | instskip(NEXT) | instid1(VALU_DEP_1)
	v_fma_f64 v[80:81], v[216:217], s[16:17], -v[174:175]
	v_add_f64 v[80:81], v[80:81], v[150:151]
	v_fma_f64 v[150:151], v[222:223], s[16:17], v[82:83]
	s_delay_alu instid0(VALU_DEP_2) | instskip(SKIP_1) | instid1(VALU_DEP_3)
	v_add_f64 v[80:81], v[86:87], v[80:81]
	v_mul_f64 v[86:87], v[246:247], s[34:35]
	v_add_f64 v[148:149], v[150:151], v[148:149]
	s_delay_alu instid0(VALU_DEP_3) | instskip(NEXT) | instid1(VALU_DEP_3)
	v_add_f64 v[80:81], v[90:91], v[80:81]
	v_fma_f64 v[150:151], v[248:249], s[2:3], v[86:87]
	v_mul_f64 v[90:91], v[12:13], s[24:25]
	v_mul_f64 v[12:13], v[12:13], s[22:23]
	s_delay_alu instid0(VALU_DEP_3) | instskip(NEXT) | instid1(VALU_DEP_3)
	v_add_f64 v[148:149], v[150:151], v[148:149]
	v_fma_f64 v[150:151], v[20:21], s[20:21], v[90:91]
	s_delay_alu instid0(VALU_DEP_1) | instskip(SKIP_3) | instid1(VALU_DEP_2)
	v_add_f64 v[150:151], v[150:151], v[148:149]
	v_add_f64 v[148:149], v[94:95], v[80:81]
	v_mul_f64 v[80:81], v[14:15], s[22:23]
	v_mul_f64 v[14:15], v[14:15], s[36:37]
	v_fma_f64 v[94:95], v[30:31], s[10:11], v[80:81]
	s_delay_alu instid0(VALU_DEP_1) | instskip(SKIP_1) | instid1(VALU_DEP_1)
	v_add_f64 v[150:151], v[94:95], v[150:151]
	v_mul_f64 v[94:95], v[220:221], s[24:25]
	v_fma_f64 v[220:221], v[208:209], s[20:21], -v[94:95]
	v_fma_f64 v[94:95], v[208:209], s[20:21], v[94:95]
	s_delay_alu instid0(VALU_DEP_2) | instskip(SKIP_1) | instid1(VALU_DEP_3)
	v_add_f64 v[154:155], v[220:221], v[154:155]
	v_mul_f64 v[220:221], v[230:231], s[24:25]
	v_add_f64 v[94:95], v[94:95], v[158:159]
	s_delay_alu instid0(VALU_DEP_2) | instskip(SKIP_1) | instid1(VALU_DEP_2)
	v_fma_f64 v[230:231], v[212:213], s[20:21], v[220:221]
	v_fma_f64 v[158:159], v[212:213], s[20:21], -v[220:221]
	v_add_f64 v[152:153], v[230:231], v[152:153]
	v_mul_f64 v[230:231], v[232:233], s[26:27]
	s_delay_alu instid0(VALU_DEP_3) | instskip(NEXT) | instid1(VALU_DEP_2)
	v_add_f64 v[156:157], v[158:159], v[156:157]
	v_fma_f64 v[232:233], v[216:217], s[8:9], -v[230:231]
	v_fma_f64 v[158:159], v[216:217], s[8:9], v[230:231]
	s_delay_alu instid0(VALU_DEP_2) | instskip(SKIP_1) | instid1(VALU_DEP_3)
	v_add_f64 v[154:155], v[232:233], v[154:155]
	v_mul_f64 v[232:233], v[242:243], s[26:27]
	v_add_f64 v[94:95], v[158:159], v[94:95]
	s_delay_alu instid0(VALU_DEP_2) | instskip(SKIP_1) | instid1(VALU_DEP_2)
	v_fma_f64 v[242:243], v[222:223], s[8:9], v[232:233]
	v_fma_f64 v[158:159], v[222:223], s[8:9], -v[232:233]
	v_add_f64 v[152:153], v[242:243], v[152:153]
	v_mul_f64 v[242:243], v[244:245], s[30:31]
	s_delay_alu instid0(VALU_DEP_3) | instskip(NEXT) | instid1(VALU_DEP_2)
	v_add_f64 v[156:157], v[158:159], v[156:157]
	;; [unrolled: 13-line block ×3, first 2 shown]
	v_fma_f64 v[252:253], v[16:17], s[10:11], -v[246:247]
	v_fma_f64 v[158:159], v[16:17], s[10:11], v[246:247]
	s_delay_alu instid0(VALU_DEP_2) | instskip(SKIP_2) | instid1(VALU_DEP_4)
	v_add_f64 v[154:155], v[252:253], v[154:155]
	v_fma_f64 v[252:253], v[20:21], s[10:11], v[12:13]
	v_fma_f64 v[12:13], v[20:21], s[10:11], -v[12:13]
	v_add_f64 v[94:95], v[158:159], v[94:95]
	s_delay_alu instid0(VALU_DEP_3) | instskip(SKIP_1) | instid1(VALU_DEP_4)
	v_add_f64 v[252:253], v[252:253], v[152:153]
	v_fma_f64 v[152:153], v[26:27], s[18:19], -v[24:25]
	v_add_f64 v[12:13], v[12:13], v[156:157]
	v_fma_f64 v[24:25], v[26:27], s[18:19], v[24:25]
	s_delay_alu instid0(VALU_DEP_3) | instskip(SKIP_2) | instid1(VALU_DEP_4)
	v_add_f64 v[152:153], v[152:153], v[154:155]
	v_fma_f64 v[154:155], v[30:31], s[18:19], v[14:15]
	v_fma_f64 v[14:15], v[30:31], s[18:19], -v[14:15]
	v_add_f64 v[156:157], v[24:25], v[94:95]
	v_fma_f64 v[24:25], v[216:217], s[16:17], v[174:175]
	s_delay_alu instid0(VALU_DEP_4) | instskip(NEXT) | instid1(VALU_DEP_4)
	v_add_f64 v[154:155], v[154:155], v[252:253]
	v_add_f64 v[158:159], v[14:15], v[12:13]
	v_fma_f64 v[12:13], v[208:209], s[18:19], v[74:75]
	v_fma_f64 v[14:15], v[212:213], s[18:19], -v[172:173]
	v_fma_f64 v[74:75], v[30:31], s[10:11], -v[80:81]
	s_delay_alu instid0(VALU_DEP_3) | instskip(NEXT) | instid1(VALU_DEP_3)
	v_add_f64 v[12:13], v[12:13], v[162:163]
	v_add_f64 v[14:15], v[14:15], v[160:161]
	s_delay_alu instid0(VALU_DEP_2) | instskip(SKIP_1) | instid1(VALU_DEP_1)
	v_add_f64 v[12:13], v[24:25], v[12:13]
	v_fma_f64 v[24:25], v[222:223], s[16:17], -v[82:83]
	v_add_f64 v[14:15], v[24:25], v[14:15]
	v_fma_f64 v[24:25], v[226:227], s[2:3], v[84:85]
	s_delay_alu instid0(VALU_DEP_1) | instskip(SKIP_1) | instid1(VALU_DEP_1)
	v_add_f64 v[12:13], v[24:25], v[12:13]
	v_fma_f64 v[24:25], v[248:249], s[2:3], -v[86:87]
	v_add_f64 v[14:15], v[24:25], v[14:15]
	v_fma_f64 v[24:25], v[16:17], s[20:21], v[88:89]
	s_delay_alu instid0(VALU_DEP_1) | instskip(SKIP_1) | instid1(VALU_DEP_1)
	v_add_f64 v[12:13], v[24:25], v[12:13]
	v_fma_f64 v[24:25], v[20:21], s[20:21], -v[90:91]
	v_add_f64 v[14:15], v[24:25], v[14:15]
	v_fma_f64 v[24:25], v[26:27], s[10:11], v[92:93]
	s_delay_alu instid0(VALU_DEP_2) | instskip(NEXT) | instid1(VALU_DEP_2)
	v_add_f64 v[162:163], v[74:75], v[14:15]
	v_add_f64 v[160:161], v[24:25], v[12:13]
	v_fma_f64 v[12:13], v[208:209], s[8:9], v[54:55]
	v_fma_f64 v[14:15], v[212:213], s[8:9], -v[58:59]
	v_fma_f64 v[24:25], v[216:217], s[20:21], v[60:61]
	v_fma_f64 v[54:55], v[30:31], s[16:17], -v[56:57]
	s_delay_alu instid0(VALU_DEP_4) | instskip(NEXT) | instid1(VALU_DEP_4)
	v_add_f64 v[12:13], v[12:13], v[170:171]
	v_add_f64 v[14:15], v[14:15], v[168:169]
	s_delay_alu instid0(VALU_DEP_2) | instskip(SKIP_1) | instid1(VALU_DEP_1)
	v_add_f64 v[12:13], v[24:25], v[12:13]
	v_fma_f64 v[24:25], v[222:223], s[20:21], -v[62:63]
	v_add_f64 v[14:15], v[24:25], v[14:15]
	v_fma_f64 v[24:25], v[226:227], s[18:19], v[64:65]
	s_delay_alu instid0(VALU_DEP_1) | instskip(SKIP_1) | instid1(VALU_DEP_1)
	v_add_f64 v[12:13], v[24:25], v[12:13]
	v_fma_f64 v[24:25], v[248:249], s[18:19], -v[66:67]
	v_add_f64 v[14:15], v[24:25], v[14:15]
	v_fma_f64 v[24:25], v[16:17], s[2:3], v[68:69]
	s_delay_alu instid0(VALU_DEP_1) | instskip(SKIP_1) | instid1(VALU_DEP_1)
	v_add_f64 v[12:13], v[24:25], v[12:13]
	v_fma_f64 v[24:25], v[20:21], s[2:3], -v[70:71]
	v_add_f64 v[14:15], v[24:25], v[14:15]
	v_fma_f64 v[24:25], v[26:27], s[16:17], v[72:73]
	s_delay_alu instid0(VALU_DEP_2)
	v_add_f64 v[170:171], v[54:55], v[14:15]
	scratch_load_b64 v[14:15], off, off offset:400 ; 8-byte Folded Reload
	v_add_f64 v[168:169], v[24:25], v[12:13]
	scratch_load_b64 v[24:25], off, off offset:392 ; 8-byte Folded Reload
	v_fma_f64 v[12:13], v[208:209], s[2:3], v[38:39]
	v_fma_f64 v[38:39], v[30:31], s[8:9], -v[52:53]
	s_waitcnt vmcnt(1)
	s_delay_alu instid0(VALU_DEP_2) | instskip(SKIP_2) | instid1(VALU_DEP_1)
	v_add_f64 v[12:13], v[12:13], v[14:15]
	v_fma_f64 v[14:15], v[212:213], s[2:3], -v[238:239]
	s_waitcnt vmcnt(0)
	v_add_f64 v[14:15], v[14:15], v[24:25]
	v_fma_f64 v[24:25], v[216:217], s[10:11], v[240:241]
	s_delay_alu instid0(VALU_DEP_1) | instskip(SKIP_1) | instid1(VALU_DEP_1)
	v_add_f64 v[12:13], v[24:25], v[12:13]
	v_fma_f64 v[24:25], v[222:223], s[10:11], -v[204:205]
	v_add_f64 v[14:15], v[24:25], v[14:15]
	v_fma_f64 v[24:25], v[226:227], s[20:21], v[206:207]
	s_delay_alu instid0(VALU_DEP_1) | instskip(SKIP_1) | instid1(VALU_DEP_1)
	v_add_f64 v[12:13], v[24:25], v[12:13]
	v_fma_f64 v[24:25], v[248:249], s[20:21], -v[164:165]
	;; [unrolled: 5-line block ×3, first 2 shown]
	v_add_f64 v[14:15], v[24:25], v[14:15]
	v_fma_f64 v[24:25], v[26:27], s[8:9], v[178:179]
	s_delay_alu instid0(VALU_DEP_2)
	v_add_f64 v[174:175], v[38:39], v[14:15]
	scratch_load_b64 v[14:15], off, off offset:384 ; 8-byte Folded Reload
	v_add_f64 v[172:173], v[24:25], v[12:13]
	scratch_load_b64 v[24:25], off, off offset:376 ; 8-byte Folded Reload
	v_fma_f64 v[12:13], v[208:209], s[10:11], v[34:35]
	v_fma_f64 v[34:35], v[30:31], s[20:21], -v[42:43]
	v_fma_f64 v[38:39], v[248:249], s[10:11], v[250:251]
	s_waitcnt vmcnt(1)
	s_delay_alu instid0(VALU_DEP_3) | instskip(SKIP_2) | instid1(VALU_DEP_1)
	v_add_f64 v[12:13], v[12:13], v[14:15]
	v_fma_f64 v[14:15], v[212:213], s[10:11], -v[234:235]
	s_waitcnt vmcnt(0)
	v_add_f64 v[14:15], v[14:15], v[24:25]
	v_fma_f64 v[24:25], v[216:217], s[2:3], v[236:237]
	s_delay_alu instid0(VALU_DEP_1) | instskip(SKIP_4) | instid1(VALU_DEP_1)
	v_add_f64 v[12:13], v[24:25], v[12:13]
	v_fma_f64 v[24:25], v[222:223], s[2:3], -v[36:37]
	scratch_load_b64 v[36:37], off, off offset:360 ; 8-byte Folded Reload
	v_add_f64 v[14:15], v[24:25], v[14:15]
	v_fma_f64 v[24:25], v[226:227], s[8:9], v[40:41]
	v_add_f64 v[12:13], v[24:25], v[12:13]
	v_fma_f64 v[24:25], v[248:249], s[8:9], -v[44:45]
	s_delay_alu instid0(VALU_DEP_1) | instskip(SKIP_4) | instid1(VALU_DEP_4)
	v_add_f64 v[14:15], v[24:25], v[14:15]
	v_fma_f64 v[24:25], v[16:17], s[18:19], v[46:47]
	v_fma_f64 v[16:17], v[16:17], s[8:9], -v[18:19]
	v_fma_f64 v[18:19], v[20:21], s[8:9], v[22:23]
	v_fma_f64 v[22:23], v[30:31], s[2:3], v[32:33]
	v_add_f64 v[12:13], v[24:25], v[12:13]
	v_fma_f64 v[24:25], v[20:21], s[18:19], -v[48:49]
	v_fma_f64 v[20:21], v[26:27], s[2:3], -v[28:29]
	s_delay_alu instid0(VALU_DEP_2) | instskip(SKIP_1) | instid1(VALU_DEP_2)
	v_add_f64 v[14:15], v[24:25], v[14:15]
	v_fma_f64 v[24:25], v[26:27], s[20:21], v[50:51]
	v_add_f64 v[178:179], v[34:35], v[14:15]
	s_delay_alu instid0(VALU_DEP_2)
	v_add_f64 v[176:177], v[24:25], v[12:13]
	v_fma_f64 v[12:13], v[208:209], s[16:17], -v[210:211]
	v_fma_f64 v[14:15], v[212:213], s[16:17], v[214:215]
	v_fma_f64 v[24:25], v[216:217], s[18:19], -v[218:219]
	v_fma_f64 v[34:35], v[222:223], s[18:19], v[224:225]
	s_waitcnt vmcnt(0)
	s_delay_alu instid0(VALU_DEP_4)
	v_add_f64 v[12:13], v[12:13], v[36:37]
	scratch_load_b64 v[36:37], off, off offset:368 ; 8-byte Folded Reload
	v_add_f64 v[12:13], v[24:25], v[12:13]
	s_waitcnt vmcnt(0)
	v_add_f64 v[14:15], v[14:15], v[36:37]
	v_fma_f64 v[36:37], v[226:227], s[10:11], -v[228:229]
	s_delay_alu instid0(VALU_DEP_2) | instskip(NEXT) | instid1(VALU_DEP_2)
	v_add_f64 v[14:15], v[34:35], v[14:15]
	v_add_f64 v[12:13], v[36:37], v[12:13]
	s_delay_alu instid0(VALU_DEP_2) | instskip(NEXT) | instid1(VALU_DEP_2)
	v_add_f64 v[14:15], v[38:39], v[14:15]
	v_add_f64 v[12:13], v[16:17], v[12:13]
	;; [unrolled: 3-line block ×3, first 2 shown]
	scratch_load_b64 v[12:13], off, off offset:344 ; 8-byte Folded Reload
	v_add_f64 v[166:167], v[22:23], v[14:15]
	scratch_load_b64 v[14:15], off, off offset:352 ; 8-byte Folded Reload
	s_waitcnt vmcnt(0)
	v_add_f64 v[14:15], v[14:15], v[78:79]
	s_delay_alu instid0(VALU_DEP_1) | instskip(NEXT) | instid1(VALU_DEP_1)
	v_add_f64 v[14:15], v[14:15], v[130:131]
	v_add_f64 v[14:15], v[14:15], v[184:185]
	s_delay_alu instid0(VALU_DEP_1) | instskip(NEXT) | instid1(VALU_DEP_1)
	v_add_f64 v[14:15], v[14:15], v[190:191]
	v_add_f64 v[14:15], v[14:15], v[194:195]
	s_delay_alu instid0(VALU_DEP_1) | instskip(NEXT) | instid1(VALU_DEP_1)
	v_add_f64 v[14:15], v[14:15], v[198:199]
	v_add_f64 v[14:15], v[14:15], v[202:203]
	s_delay_alu instid0(VALU_DEP_1) | instskip(NEXT) | instid1(VALU_DEP_1)
	v_add_f64 v[14:15], v[14:15], v[180:181]
	v_add_f64 v[8:9], v[14:15], v[8:9]
	s_delay_alu instid0(VALU_DEP_1) | instskip(NEXT) | instid1(VALU_DEP_1)
	v_add_f64 v[4:5], v[8:9], v[4:5]
	v_add_f64 v[130:131], v[4:5], v[0:1]
	scratch_load_b32 v0, off, off offset:12 ; 4-byte Folded Reload
	v_add_f64 v[12:13], v[12:13], v[76:77]
	s_delay_alu instid0(VALU_DEP_1) | instskip(NEXT) | instid1(VALU_DEP_1)
	v_add_f64 v[12:13], v[12:13], v[128:129]
	v_add_f64 v[12:13], v[12:13], v[186:187]
	s_delay_alu instid0(VALU_DEP_1) | instskip(NEXT) | instid1(VALU_DEP_1)
	v_add_f64 v[12:13], v[12:13], v[188:189]
	;; [unrolled: 3-line block ×4, first 2 shown]
	v_add_f64 v[10:11], v[12:13], v[10:11]
	s_waitcnt vmcnt(0)
	v_lshl_add_u32 v200, v254, 4, v0
	s_delay_alu instid0(VALU_DEP_2) | instskip(NEXT) | instid1(VALU_DEP_1)
	v_add_f64 v[6:7], v[10:11], v[6:7]
	v_add_f64 v[128:129], v[6:7], v[2:3]
	ds_store_b128 v200, v[132:135] offset:3264
	ds_store_b128 v200, v[136:139] offset:4896
	;; [unrolled: 1-line block ×12, first 2 shown]
	ds_store_b128 v200, v[128:131]
	s_waitcnt lgkmcnt(0)
	s_waitcnt_vscnt null, 0x0
	s_barrier
	buffer_gl0_inv
	s_and_saveexec_b32 s2, vcc_lo
	s_cbranch_execz .LBB0_13
; %bb.12:
	scratch_load_b32 v0, off, off           ; 4-byte Folded Reload
	s_waitcnt vmcnt(0)
	v_lshlrev_b32_e32 v0, 4, v0
	s_delay_alu instid0(VALU_DEP_1) | instskip(NEXT) | instid1(VALU_DEP_1)
	v_add_co_u32 v0, s1, s12, v0
	v_add_co_ci_u32_e64 v1, null, s13, 0, s1
	s_delay_alu instid0(VALU_DEP_2) | instskip(NEXT) | instid1(VALU_DEP_1)
	v_add_co_u32 v2, s1, 0x5000, v0
	v_add_co_ci_u32_e64 v3, s1, 0, v1, s1
	v_add_co_u32 v10, s1, 0x52e0, v0
	s_delay_alu instid0(VALU_DEP_1)
	v_add_co_ci_u32_e64 v11, s1, 0, v1, s1
	s_clause 0x3
	global_load_b128 v[180:183], v[2:3], off offset:736
	global_load_b128 v[2:5], v[10:11], off offset:1248
	global_load_b128 v[6:9], v[10:11], off offset:2496
	global_load_b128 v[76:79], v[10:11], off offset:3744
	v_add_co_u32 v10, s1, 0x6000, v0
	s_delay_alu instid0(VALU_DEP_1) | instskip(SKIP_4) | instid1(VALU_DEP_1)
	v_add_co_ci_u32_e64 v11, s1, 0, v1, s1
	s_clause 0x1
	global_load_b128 v[184:187], v[10:11], off offset:1632
	global_load_b128 v[188:191], v[10:11], off offset:2880
	v_add_co_u32 v10, s1, 0x7000, v0
	v_add_co_ci_u32_e64 v11, s1, 0, v1, s1
	s_clause 0x2
	global_load_b128 v[192:195], v[10:11], off offset:32
	global_load_b128 v[196:199], v[10:11], off offset:1280
	;; [unrolled: 1-line block ×3, first 2 shown]
	ds_load_b128 v[205:208], v200
	ds_load_b128 v[209:212], v200 offset:1248
	global_load_b128 v[213:216], v[10:11], off offset:3776
	ds_load_b128 v[217:220], v200 offset:2496
	v_add_co_u32 v16, s1, 0x8000, v0
	s_delay_alu instid0(VALU_DEP_1)
	v_add_co_ci_u32_e64 v17, s1, 0, v1, s1
	ds_load_b128 v[221:224], v200 offset:4992
	s_waitcnt vmcnt(9) lgkmcnt(3)
	v_mul_f64 v[12:13], v[207:208], v[182:183]
	v_mul_f64 v[14:15], v[205:206], v[182:183]
	s_waitcnt vmcnt(8) lgkmcnt(2)
	v_mul_f64 v[10:11], v[211:212], v[4:5]
	v_mul_f64 v[4:5], v[209:210], v[4:5]
	s_delay_alu instid0(VALU_DEP_4) | instskip(NEXT) | instid1(VALU_DEP_4)
	v_fma_f64 v[205:206], v[205:206], v[180:181], -v[12:13]
	v_fma_f64 v[207:208], v[207:208], v[180:181], v[14:15]
	ds_load_b128 v[180:183], v200 offset:3744
	v_fma_f64 v[209:210], v[209:210], v[2:3], -v[10:11]
	v_fma_f64 v[211:212], v[211:212], v[2:3], v[4:5]
	global_load_b128 v[2:5], v[16:17], off offset:928
	s_waitcnt vmcnt(8) lgkmcnt(2)
	v_mul_f64 v[10:11], v[219:220], v[8:9]
	v_mul_f64 v[12:13], v[217:218], v[8:9]
	s_waitcnt vmcnt(7) lgkmcnt(0)
	v_mul_f64 v[14:15], v[182:183], v[78:79]
	v_mul_f64 v[18:19], v[180:181], v[78:79]
	s_delay_alu instid0(VALU_DEP_4) | instskip(NEXT) | instid1(VALU_DEP_4)
	v_fma_f64 v[8:9], v[217:218], v[6:7], -v[10:11]
	v_fma_f64 v[10:11], v[219:220], v[6:7], v[12:13]
	global_load_b128 v[217:220], v[16:17], off offset:2176
	v_fma_f64 v[180:181], v[180:181], v[76:77], -v[14:15]
	v_fma_f64 v[182:183], v[182:183], v[76:77], v[18:19]
	ds_load_b128 v[76:79], v200 offset:6240
	s_waitcnt vmcnt(7)
	v_mul_f64 v[6:7], v[223:224], v[186:187]
	v_mul_f64 v[12:13], v[221:222], v[186:187]
	v_add_co_u32 v14, s1, 0x9000, v0
	s_delay_alu instid0(VALU_DEP_1) | instskip(SKIP_1) | instid1(VALU_DEP_1)
	v_add_co_ci_u32_e64 v15, s1, 0, v1, s1
	v_add_co_u32 v0, s1, 0xa000, v0
	v_add_co_ci_u32_e64 v1, s1, 0, v1, s1
	v_fma_f64 v[221:222], v[221:222], v[184:185], -v[6:7]
	v_fma_f64 v[223:224], v[223:224], v[184:185], v[12:13]
	s_waitcnt vmcnt(6) lgkmcnt(0)
	v_mul_f64 v[6:7], v[78:79], v[190:191]
	v_mul_f64 v[12:13], v[76:77], v[190:191]
	ds_load_b128 v[184:187], v200 offset:7488
	v_fma_f64 v[76:77], v[76:77], v[188:189], -v[6:7]
	v_fma_f64 v[78:79], v[78:79], v[188:189], v[12:13]
	ds_load_b128 v[188:191], v200 offset:8736
	s_waitcnt vmcnt(5) lgkmcnt(1)
	v_mul_f64 v[6:7], v[186:187], v[194:195]
	v_mul_f64 v[12:13], v[184:185], v[194:195]
	s_delay_alu instid0(VALU_DEP_2) | instskip(NEXT) | instid1(VALU_DEP_2)
	v_fma_f64 v[184:185], v[184:185], v[192:193], -v[6:7]
	v_fma_f64 v[186:187], v[186:187], v[192:193], v[12:13]
	s_waitcnt vmcnt(4) lgkmcnt(0)
	v_mul_f64 v[6:7], v[190:191], v[198:199]
	v_mul_f64 v[12:13], v[188:189], v[198:199]
	ds_load_b128 v[192:195], v200 offset:9984
	v_fma_f64 v[188:189], v[188:189], v[196:197], -v[6:7]
	v_fma_f64 v[190:191], v[190:191], v[196:197], v[12:13]
	ds_load_b128 v[196:199], v200 offset:11232
	s_waitcnt vmcnt(3) lgkmcnt(1)
	v_mul_f64 v[6:7], v[194:195], v[203:204]
	v_mul_f64 v[12:13], v[192:193], v[203:204]
	s_delay_alu instid0(VALU_DEP_2) | instskip(NEXT) | instid1(VALU_DEP_2)
	;; [unrolled: 13-line block ×3, first 2 shown]
	v_fma_f64 v[4:5], v[201:202], v[2:3], -v[6:7]
	v_fma_f64 v[6:7], v[203:204], v[2:3], v[12:13]
	global_load_b128 v[201:204], v[16:17], off offset:3424
	s_waitcnt vmcnt(1) lgkmcnt(0)
	v_mul_f64 v[2:3], v[215:216], v[219:220]
	v_mul_f64 v[12:13], v[213:214], v[219:220]
	s_delay_alu instid0(VALU_DEP_2) | instskip(NEXT) | instid1(VALU_DEP_2)
	v_fma_f64 v[213:214], v[213:214], v[217:218], -v[2:3]
	v_fma_f64 v[215:216], v[215:216], v[217:218], v[12:13]
	global_load_b128 v[217:220], v[14:15], off offset:576
	ds_load_b128 v[225:228], v200 offset:14976
	ds_load_b128 v[229:232], v200 offset:16224
	s_waitcnt vmcnt(1) lgkmcnt(1)
	v_mul_f64 v[2:3], v[227:228], v[203:204]
	v_mul_f64 v[12:13], v[225:226], v[203:204]
	s_delay_alu instid0(VALU_DEP_2) | instskip(NEXT) | instid1(VALU_DEP_2)
	v_fma_f64 v[225:226], v[225:226], v[201:202], -v[2:3]
	v_fma_f64 v[227:228], v[227:228], v[201:202], v[12:13]
	s_waitcnt vmcnt(0) lgkmcnt(0)
	v_mul_f64 v[2:3], v[231:232], v[219:220]
	v_mul_f64 v[12:13], v[229:230], v[219:220]
	s_delay_alu instid0(VALU_DEP_2) | instskip(NEXT) | instid1(VALU_DEP_2)
	v_fma_f64 v[201:202], v[229:230], v[217:218], -v[2:3]
	v_fma_f64 v[203:204], v[231:232], v[217:218], v[12:13]
	s_clause 0x1
	global_load_b128 v[217:220], v[14:15], off offset:1824
	global_load_b128 v[229:232], v[14:15], off offset:3072
	ds_load_b128 v[233:236], v200 offset:17472
	ds_load_b128 v[237:240], v200 offset:18720
	s_waitcnt vmcnt(1) lgkmcnt(1)
	v_mul_f64 v[2:3], v[235:236], v[219:220]
	v_mul_f64 v[12:13], v[233:234], v[219:220]
	s_delay_alu instid0(VALU_DEP_2) | instskip(SKIP_2) | instid1(VALU_DEP_3)
	v_fma_f64 v[233:234], v[233:234], v[217:218], -v[2:3]
	s_waitcnt vmcnt(0) lgkmcnt(0)
	v_mul_f64 v[2:3], v[239:240], v[231:232]
	v_fma_f64 v[235:236], v[235:236], v[217:218], v[12:13]
	v_mul_f64 v[12:13], v[237:238], v[231:232]
	s_delay_alu instid0(VALU_DEP_3)
	v_fma_f64 v[217:218], v[237:238], v[229:230], -v[2:3]
	global_load_b128 v[0:3], v[0:1], off offset:224
	v_fma_f64 v[219:220], v[239:240], v[229:230], v[12:13]
	ds_load_b128 v[229:232], v200 offset:19968
	s_waitcnt vmcnt(0) lgkmcnt(0)
	v_mul_f64 v[12:13], v[231:232], v[2:3]
	v_mul_f64 v[2:3], v[229:230], v[2:3]
	s_delay_alu instid0(VALU_DEP_2) | instskip(NEXT) | instid1(VALU_DEP_2)
	v_fma_f64 v[229:230], v[229:230], v[0:1], -v[12:13]
	v_fma_f64 v[231:232], v[231:232], v[0:1], v[2:3]
	ds_store_b128 v200, v[205:208]
	ds_store_b128 v200, v[209:212] offset:1248
	ds_store_b128 v200, v[8:11] offset:2496
	;; [unrolled: 1-line block ×16, first 2 shown]
.LBB0_13:
	s_or_b32 exec_lo, exec_lo, s2
	s_waitcnt lgkmcnt(0)
	s_barrier
	buffer_gl0_inv
	s_and_saveexec_b32 s1, vcc_lo
	s_cbranch_execz .LBB0_15
; %bb.14:
	ds_load_b128 v[128:131], v200
	ds_load_b128 v[164:167], v200 offset:1248
	ds_load_b128 v[132:135], v200 offset:2496
	;; [unrolled: 1-line block ×16, first 2 shown]
.LBB0_15:
	s_or_b32 exec_lo, exec_lo, s1
	s_waitcnt lgkmcnt(0)
	v_add_f64 v[245:246], v[166:167], -v[118:119]
	s_mov_b32 s16, 0x5d8e7cdc
	s_mov_b32 s17, 0xbfd71e95
	v_add_f64 v[241:242], v[164:165], v[116:117]
	v_add_f64 v[215:216], v[134:135], -v[114:115]
	s_mov_b32 s2, 0x370991
	s_mov_b32 s10, 0x2a9d6da3
	;; [unrolled: 1-line block ×4, first 2 shown]
	v_add_f64 v[201:202], v[132:133], v[112:113]
	s_mov_b32 s8, 0x75d4884
	s_mov_b32 s9, 0x3fe7a5f6
	v_add_f64 v[4:5], v[166:167], v[118:119]
	v_add_f64 v[213:214], v[134:135], v[114:115]
	v_add_f64 v[209:210], v[132:133], -v[112:113]
	v_add_f64 v[227:228], v[138:139], -v[122:123]
	s_mov_b32 s20, 0x7c9e640b
	s_mov_b32 s21, 0xbfeca52d
	v_add_f64 v[205:206], v[136:137], v[120:121]
	v_add_f64 v[225:226], v[138:139], v[122:123]
	s_mov_b32 s18, 0x2b2883cd
	s_mov_b32 s19, 0x3fdc86fa
	v_add_f64 v[221:222], v[136:137], -v[120:121]
	v_add_f64 v[237:238], v[146:147], -v[126:127]
	s_mov_b32 s24, 0xeb564b22
	s_mov_b32 s25, 0xbfefdd0d
	v_add_f64 v[217:218], v[144:145], v[124:125]
	v_add_f64 v[239:240], v[146:147], v[126:127]
	s_mov_b32 s22, 0x3259b75e
	s_mov_b32 s23, 0x3fb79ee6
	;; [unrolled: 8-line block ×3, first 2 shown]
	v_mul_f64 v[46:47], v[245:246], s[16:17]
	v_add_f64 v[251:252], v[148:149], -v[140:141]
	v_add_f64 v[253:254], v[154:155], -v[178:179]
	s_mov_b32 s34, 0x6c9a05f6
	v_mul_f64 v[2:3], v[215:216], s[10:11]
	s_mov_b32 s35, 0xbfe9895b
	v_add_f64 v[247:248], v[152:153], v[176:177]
	v_add_f64 v[211:212], v[154:155], v[178:179]
	s_mov_b32 s30, 0x6ed5f1bb
	s_mov_b32 s31, 0xbfe348c8
	v_add_f64 v[223:224], v[152:153], -v[176:177]
	v_add_f64 v[76:77], v[158:159], -v[174:175]
	v_mul_f64 v[42:43], v[4:5], s[2:3]
	v_mul_f64 v[18:19], v[213:214], s[8:9]
	s_mov_b32 s44, 0x4363dd80
	v_mul_f64 v[94:95], v[227:228], s[20:21]
	s_mov_b32 s45, 0x3fe0d888
	s_mov_b32 s39, 0xbfe0d888
	;; [unrolled: 1-line block ×3, first 2 shown]
	v_mul_f64 v[22:23], v[225:226], s[18:19]
	v_add_f64 v[207:208], v[156:157], v[172:173]
	v_add_f64 v[243:244], v[158:159], v[174:175]
	s_mov_b32 s36, 0x910ea3b9
	v_mul_f64 v[20:21], v[237:238], s[24:25]
	s_mov_b32 s37, 0xbfeb34fa
	v_add_f64 v[249:250], v[156:157], -v[172:173]
	s_mov_b32 s42, 0xacd6c6b4
	v_mul_f64 v[26:27], v[239:240], s[22:23]
	s_mov_b32 s43, 0xbfc7851a
	v_add_f64 v[235:236], v[160:161], v[168:169]
	v_add_f64 v[78:79], v[162:163], v[170:171]
	v_mul_f64 v[24:25], v[203:204], s[28:29]
	s_mov_b32 s40, 0x7faef3
	s_mov_b32 s41, 0xbfef7484
	v_add_f64 v[231:232], v[160:161], -v[168:169]
	v_mul_f64 v[30:31], v[219:220], s[26:27]
	v_mul_f64 v[90:91], v[215:216], s[24:25]
	;; [unrolled: 1-line block ×3, first 2 shown]
	v_fma_f64 v[0:1], v[241:242], s[2:3], -v[46:47]
	v_mul_f64 v[44:45], v[227:228], s[34:35]
	v_mul_f64 v[28:29], v[253:254], s[34:35]
	v_mul_f64 v[82:83], v[225:226], s[30:31]
	scratch_store_b64 off, v[2:3], off offset:712 ; 8-byte Folded Spill
	v_fma_f64 v[2:3], v[201:202], s[8:9], -v[2:3]
	v_mul_f64 v[48:49], v[237:238], s[42:43]
	v_mul_f64 v[34:35], v[211:212], s[30:31]
	;; [unrolled: 1-line block ×6, first 2 shown]
	s_mov_b32 s49, 0x3feec746
	v_fma_f64 v[8:9], v[209:210], s[10:11], v[18:19]
	s_mov_b32 s48, s28
	s_mov_b32 s46, s20
	v_mul_f64 v[86:87], v[253:254], s[48:49]
	v_mul_f64 v[52:53], v[76:77], s[46:47]
	s_mov_b32 s53, 0x3fd71e95
	s_mov_b32 s52, s16
	v_mul_f64 v[50:51], v[215:216], s[34:35]
	v_mul_f64 v[38:39], v[243:244], s[36:37]
	v_mul_f64 v[60:61], v[243:244], s[18:19]
	v_mul_f64 v[62:63], v[213:214], s[30:31]
	s_mov_b32 s57, 0x3fc7851a
	s_mov_b32 s56, s42
	v_mul_f64 v[72:73], v[225:226], s[40:41]
	v_mul_f64 v[56:57], v[227:228], s[56:57]
	;; [unrolled: 1-line block ×3, first 2 shown]
	s_mov_b32 s50, s10
	v_mul_f64 v[40:41], v[78:79], s[40:41]
	v_mul_f64 v[68:69], v[78:79], s[2:3]
	;; [unrolled: 1-line block ×5, first 2 shown]
	s_mov_b32 s59, 0x3fe9895b
	s_mov_b32 s58, s34
	v_mul_f64 v[16:17], v[213:214], s[36:37]
	v_add_f64 v[0:1], v[128:129], v[0:1]
	s_mov_b32 s55, 0x3fefdd0d
	s_mov_b32 s54, s24
	scratch_store_b64 off, v[12:13], off offset:368 ; 8-byte Folded Spill
	v_fma_f64 v[12:13], v[209:210], s[42:43], v[12:13]
	scratch_store_b64 off, v[16:17], off offset:536 ; 8-byte Folded Spill
	v_add_f64 v[0:1], v[2:3], v[0:1]
	v_add_f64 v[2:3], v[164:165], -v[116:117]
	v_fma_f64 v[16:17], v[209:210], s[44:45], v[16:17]
	s_delay_alu instid0(VALU_DEP_2) | instskip(NEXT) | instid1(VALU_DEP_1)
	v_fma_f64 v[6:7], v[2:3], s[16:17], v[42:43]
	v_add_f64 v[6:7], v[130:131], v[6:7]
	s_delay_alu instid0(VALU_DEP_1) | instskip(SKIP_1) | instid1(VALU_DEP_1)
	v_add_f64 v[6:7], v[8:9], v[6:7]
	v_fma_f64 v[8:9], v[205:206], s[18:19], -v[94:95]
	v_add_f64 v[0:1], v[8:9], v[0:1]
	v_fma_f64 v[8:9], v[221:222], s[20:21], v[22:23]
	s_delay_alu instid0(VALU_DEP_1) | instskip(SKIP_1) | instid1(VALU_DEP_1)
	v_add_f64 v[6:7], v[8:9], v[6:7]
	v_fma_f64 v[8:9], v[217:218], s[22:23], -v[20:21]
	v_add_f64 v[0:1], v[8:9], v[0:1]
	v_fma_f64 v[8:9], v[233:234], s[24:25], v[26:27]
	;; [unrolled: 5-line block ×5, first 2 shown]
	s_delay_alu instid0(VALU_DEP_1) | instskip(SKIP_1) | instid1(VALU_DEP_1)
	v_add_f64 v[6:7], v[0:1], v[6:7]
	v_add_f64 v[0:1], v[162:163], -v[170:171]
	v_mul_f64 v[36:37], v[0:1], s[42:43]
	v_mul_f64 v[54:55], v[0:1], s[52:53]
	;; [unrolled: 1-line block ×3, first 2 shown]
	s_delay_alu instid0(VALU_DEP_3) | instskip(NEXT) | instid1(VALU_DEP_1)
	v_fma_f64 v[10:11], v[235:236], s[40:41], -v[36:37]
	v_add_f64 v[180:181], v[10:11], v[8:9]
	v_fma_f64 v[8:9], v[231:232], s[42:43], v[40:41]
	v_fma_f64 v[10:11], v[209:210], s[24:25], v[84:85]
	s_delay_alu instid0(VALU_DEP_2) | instskip(SKIP_4) | instid1(VALU_DEP_1)
	v_add_f64 v[182:183], v[8:9], v[6:7]
	v_mul_f64 v[6:7], v[245:246], s[10:11]
	v_fma_f64 v[8:9], v[201:202], s[22:23], -v[90:91]
	scratch_store_b64 off, v[6:7], off offset:696 ; 8-byte Folded Spill
	v_fma_f64 v[6:7], v[241:242], s[8:9], -v[6:7]
	v_add_f64 v[6:7], v[128:129], v[6:7]
	s_delay_alu instid0(VALU_DEP_1) | instskip(SKIP_3) | instid1(VALU_DEP_1)
	v_add_f64 v[6:7], v[8:9], v[6:7]
	v_mul_f64 v[8:9], v[4:5], s[8:9]
	scratch_store_b64 off, v[8:9], off offset:704 ; 8-byte Folded Spill
	v_fma_f64 v[8:9], v[2:3], s[10:11], v[8:9]
	v_add_f64 v[8:9], v[130:131], v[8:9]
	s_delay_alu instid0(VALU_DEP_1) | instskip(SKIP_1) | instid1(VALU_DEP_1)
	v_add_f64 v[8:9], v[10:11], v[8:9]
	v_fma_f64 v[10:11], v[205:206], s[30:31], -v[44:45]
	v_add_f64 v[6:7], v[10:11], v[6:7]
	v_fma_f64 v[10:11], v[221:222], s[34:35], v[82:83]
	s_delay_alu instid0(VALU_DEP_1) | instskip(SKIP_1) | instid1(VALU_DEP_1)
	v_add_f64 v[8:9], v[10:11], v[8:9]
	v_fma_f64 v[10:11], v[217:218], s[40:41], -v[48:49]
	v_add_f64 v[6:7], v[10:11], v[6:7]
	v_fma_f64 v[10:11], v[233:234], s[42:43], v[80:81]
	;; [unrolled: 5-line block ×3, first 2 shown]
	s_delay_alu instid0(VALU_DEP_1) | instskip(SKIP_1) | instid1(VALU_DEP_1)
	v_add_f64 v[8:9], v[10:11], v[8:9]
	v_fma_f64 v[10:11], v[247:248], s[26:27], -v[86:87]
	v_add_f64 v[6:7], v[10:11], v[6:7]
	v_mul_f64 v[10:11], v[211:212], s[26:27]
	scratch_store_b64 off, v[10:11], off offset:384 ; 8-byte Folded Spill
	v_fma_f64 v[10:11], v[223:224], s[48:49], v[10:11]
	s_delay_alu instid0(VALU_DEP_1) | instskip(SKIP_1) | instid1(VALU_DEP_1)
	v_add_f64 v[8:9], v[10:11], v[8:9]
	v_fma_f64 v[10:11], v[207:208], s[18:19], -v[52:53]
	v_add_f64 v[6:7], v[10:11], v[6:7]
	v_fma_f64 v[10:11], v[249:250], s[46:47], v[60:61]
	s_delay_alu instid0(VALU_DEP_1) | instskip(SKIP_1) | instid1(VALU_DEP_1)
	v_add_f64 v[8:9], v[10:11], v[8:9]
	v_fma_f64 v[10:11], v[235:236], s[2:3], -v[54:55]
	v_add_f64 v[184:185], v[10:11], v[6:7]
	v_fma_f64 v[6:7], v[231:232], s[52:53], v[68:69]
	v_fma_f64 v[10:11], v[209:210], s[34:35], v[62:63]
	s_delay_alu instid0(VALU_DEP_2) | instskip(SKIP_4) | instid1(VALU_DEP_1)
	v_add_f64 v[186:187], v[6:7], v[8:9]
	v_mul_f64 v[6:7], v[245:246], s[20:21]
	v_fma_f64 v[8:9], v[201:202], s[30:31], -v[50:51]
	scratch_store_b64 off, v[6:7], off offset:720 ; 8-byte Folded Spill
	v_fma_f64 v[6:7], v[241:242], s[18:19], -v[6:7]
	v_add_f64 v[6:7], v[128:129], v[6:7]
	s_delay_alu instid0(VALU_DEP_1) | instskip(SKIP_3) | instid1(VALU_DEP_1)
	v_add_f64 v[6:7], v[8:9], v[6:7]
	v_mul_f64 v[8:9], v[4:5], s[18:19]
	scratch_store_b64 off, v[8:9], off offset:728 ; 8-byte Folded Spill
	v_fma_f64 v[8:9], v[2:3], s[20:21], v[8:9]
	v_add_f64 v[8:9], v[130:131], v[8:9]
	s_delay_alu instid0(VALU_DEP_1) | instskip(SKIP_1) | instid1(VALU_DEP_1)
	v_add_f64 v[8:9], v[10:11], v[8:9]
	v_fma_f64 v[10:11], v[205:206], s[40:41], -v[56:57]
	v_add_f64 v[6:7], v[10:11], v[6:7]
	v_fma_f64 v[10:11], v[221:222], s[56:57], v[72:73]
	s_delay_alu instid0(VALU_DEP_1) | instskip(SKIP_1) | instid1(VALU_DEP_1)
	v_add_f64 v[8:9], v[10:11], v[8:9]
	v_fma_f64 v[10:11], v[217:218], s[26:27], -v[58:59]
	v_add_f64 v[6:7], v[10:11], v[6:7]
	v_mul_f64 v[10:11], v[239:240], s[26:27]
	scratch_store_b64 off, v[10:11], off offset:392 ; 8-byte Folded Spill
	v_fma_f64 v[10:11], v[233:234], s[48:49], v[10:11]
	s_delay_alu instid0(VALU_DEP_1) | instskip(SKIP_3) | instid1(VALU_DEP_1)
	v_add_f64 v[8:9], v[10:11], v[8:9]
	v_mul_f64 v[10:11], v[203:204], s[50:51]
	scratch_store_b64 off, v[10:11], off offset:376 ; 8-byte Folded Spill
	v_fma_f64 v[10:11], v[229:230], s[8:9], -v[10:11]
	v_add_f64 v[6:7], v[10:11], v[6:7]
	v_mul_f64 v[10:11], v[219:220], s[8:9]
	scratch_store_b64 off, v[10:11], off offset:560 ; 8-byte Folded Spill
	v_fma_f64 v[10:11], v[251:252], s[50:51], v[10:11]
	s_delay_alu instid0(VALU_DEP_1) | instskip(SKIP_3) | instid1(VALU_DEP_1)
	v_add_f64 v[8:9], v[10:11], v[8:9]
	v_mul_f64 v[10:11], v[253:254], s[16:17]
	scratch_store_b64 off, v[10:11], off offset:528 ; 8-byte Folded Spill
	;; [unrolled: 9-line block ×3, first 2 shown]
	v_fma_f64 v[10:11], v[207:208], s[22:23], -v[10:11]
	v_add_f64 v[6:7], v[10:11], v[6:7]
	v_mul_f64 v[10:11], v[243:244], s[22:23]
	scratch_store_b64 off, v[10:11], off offset:400 ; 8-byte Folded Spill
	v_fma_f64 v[10:11], v[249:250], s[24:25], v[10:11]
	s_delay_alu instid0(VALU_DEP_1) | instskip(SKIP_1) | instid1(VALU_DEP_1)
	v_add_f64 v[8:9], v[10:11], v[8:9]
	v_fma_f64 v[10:11], v[235:236], s[36:37], -v[70:71]
	v_add_f64 v[188:189], v[10:11], v[6:7]
	v_mul_f64 v[6:7], v[78:79], s[36:37]
	scratch_store_b64 off, v[6:7], off offset:488 ; 8-byte Folded Spill
	v_fma_f64 v[6:7], v[231:232], s[38:39], v[6:7]
	s_delay_alu instid0(VALU_DEP_1) | instskip(SKIP_2) | instid1(VALU_DEP_2)
	v_add_f64 v[190:191], v[6:7], v[8:9]
	v_mul_f64 v[6:7], v[245:246], s[24:25]
	v_fma_f64 v[8:9], v[201:202], s[40:41], -v[64:65]
	v_dual_mov_b32 v93, v7 :: v_dual_mov_b32 v92, v6
	v_fma_f64 v[6:7], v[241:242], s[22:23], -v[6:7]
	s_delay_alu instid0(VALU_DEP_1) | instskip(NEXT) | instid1(VALU_DEP_1)
	v_add_f64 v[6:7], v[128:129], v[6:7]
	v_add_f64 v[8:9], v[8:9], v[6:7]
	v_mul_f64 v[6:7], v[4:5], s[22:23]
	s_delay_alu instid0(VALU_DEP_1) | instskip(NEXT) | instid1(VALU_DEP_1)
	v_fma_f64 v[10:11], v[2:3], s[24:25], v[6:7]
	v_add_f64 v[10:11], v[130:131], v[10:11]
	s_delay_alu instid0(VALU_DEP_1) | instskip(SKIP_1) | instid1(VALU_DEP_1)
	v_add_f64 v[10:11], v[12:13], v[10:11]
	v_fma_f64 v[12:13], v[205:206], s[26:27], -v[74:75]
	v_add_f64 v[8:9], v[12:13], v[8:9]
	v_mul_f64 v[12:13], v[225:226], s[26:27]
	scratch_store_b64 off, v[12:13], off offset:520 ; 8-byte Folded Spill
	v_fma_f64 v[12:13], v[221:222], s[48:49], v[12:13]
	s_delay_alu instid0(VALU_DEP_1) | instskip(SKIP_3) | instid1(VALU_DEP_1)
	v_add_f64 v[10:11], v[12:13], v[10:11]
	v_mul_f64 v[12:13], v[237:238], s[52:53]
	scratch_store_b64 off, v[12:13], off offset:360 ; 8-byte Folded Spill
	v_fma_f64 v[12:13], v[217:218], s[2:3], -v[12:13]
	v_add_f64 v[8:9], v[12:13], v[8:9]
	v_mul_f64 v[12:13], v[239:240], s[2:3]
	scratch_store_b64 off, v[12:13], off offset:576 ; 8-byte Folded Spill
	v_fma_f64 v[12:13], v[233:234], s[52:53], v[12:13]
	s_delay_alu instid0(VALU_DEP_1) | instskip(SKIP_3) | instid1(VALU_DEP_1)
	v_add_f64 v[10:11], v[12:13], v[10:11]
	v_mul_f64 v[12:13], v[203:204], s[20:21]
	scratch_store_b64 off, v[12:13], off offset:552 ; 8-byte Folded Spill
	;; [unrolled: 9-line block ×5, first 2 shown]
	v_fma_f64 v[12:13], v[235:236], s[8:9], -v[12:13]
	v_add_f64 v[196:197], v[12:13], v[8:9]
	v_mul_f64 v[8:9], v[78:79], s[8:9]
	v_mul_f64 v[12:13], v[215:216], s[44:45]
	s_clause 0x1
	scratch_store_b64 off, v[12:13], off offset:352
	scratch_store_b64 off, v[8:9], off offset:568
	v_fma_f64 v[8:9], v[231:232], s[50:51], v[8:9]
	v_fma_f64 v[12:13], v[201:202], s[36:37], -v[12:13]
	s_delay_alu instid0(VALU_DEP_2) | instskip(SKIP_1) | instid1(VALU_DEP_1)
	v_add_f64 v[198:199], v[8:9], v[10:11]
	v_mul_f64 v[8:9], v[245:246], s[28:29]
	v_fma_f64 v[10:11], v[241:242], s[26:27], -v[8:9]
	s_delay_alu instid0(VALU_DEP_1) | instskip(NEXT) | instid1(VALU_DEP_1)
	v_add_f64 v[10:11], v[128:129], v[10:11]
	v_add_f64 v[12:13], v[12:13], v[10:11]
	v_mul_f64 v[10:11], v[4:5], s[26:27]
	s_delay_alu instid0(VALU_DEP_1) | instskip(NEXT) | instid1(VALU_DEP_1)
	v_fma_f64 v[14:15], v[2:3], s[28:29], v[10:11]
	v_add_f64 v[14:15], v[130:131], v[14:15]
	s_delay_alu instid0(VALU_DEP_1) | instskip(SKIP_3) | instid1(VALU_DEP_1)
	v_add_f64 v[14:15], v[16:17], v[14:15]
	v_mul_f64 v[16:17], v[227:228], s[50:51]
	scratch_store_b64 off, v[16:17], off offset:496 ; 8-byte Folded Spill
	v_fma_f64 v[16:17], v[205:206], s[8:9], -v[16:17]
	v_add_f64 v[12:13], v[16:17], v[12:13]
	v_mul_f64 v[16:17], v[225:226], s[8:9]
	scratch_store_b64 off, v[16:17], off offset:600 ; 8-byte Folded Spill
	v_fma_f64 v[16:17], v[221:222], s[50:51], v[16:17]
	s_delay_alu instid0(VALU_DEP_1) | instskip(SKIP_3) | instid1(VALU_DEP_1)
	v_add_f64 v[14:15], v[16:17], v[14:15]
	v_mul_f64 v[16:17], v[237:238], s[20:21]
	scratch_store_b64 off, v[16:17], off offset:504 ; 8-byte Folded Spill
	v_fma_f64 v[16:17], v[217:218], s[18:19], -v[16:17]
	v_add_f64 v[12:13], v[16:17], v[12:13]
	v_mul_f64 v[16:17], v[239:240], s[18:19]
	scratch_store_b64 off, v[16:17], off offset:648 ; 8-byte Folded Spill
	v_fma_f64 v[16:17], v[233:234], s[20:21], v[16:17]
	;; [unrolled: 9-line block ×5, first 2 shown]
	s_delay_alu instid0(VALU_DEP_1)
	v_add_f64 v[14:15], v[16:17], v[14:15]
	v_mul_f64 v[16:17], v[0:1], s[34:35]
	scratch_store_b64 off, v[16:17], off offset:592 ; 8-byte Folded Spill
	v_fma_f64 v[16:17], v[235:236], s[30:31], -v[16:17]
	s_waitcnt_vscnt null, 0x0
	s_barrier
	buffer_gl0_inv
	v_add_f64 v[192:193], v[16:17], v[12:13]
	v_mul_f64 v[16:17], v[78:79], s[30:31]
	s_delay_alu instid0(VALU_DEP_1) | instskip(NEXT) | instid1(VALU_DEP_1)
	v_fma_f64 v[12:13], v[231:232], s[34:35], v[16:17]
	v_add_f64 v[194:195], v[12:13], v[14:15]
	s_and_saveexec_b32 s1, vcc_lo
	s_cbranch_execz .LBB0_17
; %bb.16:
	v_add_f64 v[12:13], v[130:131], v[166:167]
	v_add_f64 v[14:15], v[128:129], v[164:165]
	v_dual_mov_b32 v165, v39 :: v_dual_mov_b32 v164, v38
	v_dual_mov_b32 v167, v41 :: v_dual_mov_b32 v166, v40
	s_delay_alu instid0(VALU_DEP_4) | instskip(NEXT) | instid1(VALU_DEP_4)
	v_add_f64 v[12:13], v[12:13], v[134:135]
	v_add_f64 v[14:15], v[14:15], v[132:133]
	v_dual_mov_b32 v133, v59 :: v_dual_mov_b32 v132, v58
	v_dual_mov_b32 v135, v61 :: v_dual_mov_b32 v134, v60
	s_delay_alu instid0(VALU_DEP_4) | instskip(NEXT) | instid1(VALU_DEP_4)
	;; [unrolled: 5-line block ×3, first 2 shown]
	v_add_f64 v[12:13], v[12:13], v[146:147]
	v_add_f64 v[14:15], v[14:15], v[144:145]
	v_dual_mov_b32 v147, v21 :: v_dual_mov_b32 v146, v20
	v_mul_f64 v[20:21], v[2:3], s[34:35]
	v_dual_mov_b32 v145, v19 :: v_dual_mov_b32 v144, v18
	v_add_f64 v[12:13], v[12:13], v[150:151]
	v_add_f64 v[14:15], v[14:15], v[148:149]
	v_dual_mov_b32 v149, v23 :: v_dual_mov_b32 v148, v22
	v_fma_f64 v[22:23], v[4:5], s[30:31], v[20:21]
	v_dual_mov_b32 v151, v25 :: v_dual_mov_b32 v150, v24
	v_mul_f64 v[24:25], v[2:3], s[20:21]
	v_add_f64 v[12:13], v[12:13], v[154:155]
	v_add_f64 v[14:15], v[14:15], v[152:153]
	v_dual_mov_b32 v155, v29 :: v_dual_mov_b32 v154, v28
	v_mul_f64 v[28:29], v[2:3], s[10:11]
	v_dual_mov_b32 v153, v27 :: v_dual_mov_b32 v152, v26
	v_mul_f64 v[26:27], v[241:242], s[18:19]
	v_add_f64 v[22:23], v[130:131], v[22:23]
	v_add_f64 v[12:13], v[12:13], v[158:159]
	;; [unrolled: 1-line block ×3, first 2 shown]
	v_dual_mov_b32 v159, v33 :: v_dual_mov_b32 v158, v32
	v_mul_f64 v[32:33], v[245:246], s[42:43]
	v_dual_mov_b32 v157, v31 :: v_dual_mov_b32 v156, v30
	v_mul_f64 v[30:31], v[241:242], s[8:9]
	v_add_f64 v[12:13], v[12:13], v[162:163]
	v_add_f64 v[14:15], v[14:15], v[160:161]
	v_dual_mov_b32 v161, v35 :: v_dual_mov_b32 v160, v34
	v_fma_f64 v[38:39], v[241:242], s[40:41], -v[32:33]
	v_mul_f64 v[34:35], v[245:246], s[38:39]
	v_dual_mov_b32 v163, v37 :: v_dual_mov_b32 v162, v36
	v_mul_f64 v[36:37], v[245:246], s[34:35]
	v_fma_f64 v[32:33], v[241:242], s[40:41], v[32:33]
	v_add_f64 v[12:13], v[12:13], v[170:171]
	v_add_f64 v[14:15], v[14:15], v[168:169]
	v_dual_mov_b32 v171, v73 :: v_dual_mov_b32 v170, v72
	v_add_f64 v[38:39], v[128:129], v[38:39]
	v_fma_f64 v[40:41], v[241:242], s[36:37], -v[34:35]
	v_fma_f64 v[34:35], v[241:242], s[36:37], v[34:35]
	v_mul_f64 v[72:73], v[231:232], s[54:55]
	v_dual_mov_b32 v169, v71 :: v_dual_mov_b32 v168, v70
	v_add_f64 v[32:33], v[128:129], v[32:33]
	v_add_f64 v[12:13], v[12:13], v[174:175]
	;; [unrolled: 1-line block ×3, first 2 shown]
	v_dual_mov_b32 v175, v17 :: v_dual_mov_b32 v174, v16
	v_mul_f64 v[16:17], v[2:3], s[38:39]
	v_add_f64 v[40:41], v[128:129], v[40:41]
	v_add_f64 v[34:35], v[128:129], v[34:35]
	v_dual_mov_b32 v173, v75 :: v_dual_mov_b32 v172, v74
	v_mul_f64 v[74:75], v[0:1], s[54:55]
	v_add_f64 v[12:13], v[12:13], v[178:179]
	v_add_f64 v[14:15], v[14:15], v[176:177]
	v_fma_f64 v[18:19], v[4:5], s[36:37], v[16:17]
	v_fma_f64 v[16:17], v[4:5], s[36:37], -v[16:17]
	s_delay_alu instid0(VALU_DEP_4) | instskip(NEXT) | instid1(VALU_DEP_4)
	v_add_f64 v[12:13], v[12:13], v[142:143]
	v_add_f64 v[14:15], v[14:15], v[140:141]
	v_dual_mov_b32 v141, v67 :: v_dual_mov_b32 v140, v66
	v_add_f64 v[18:19], v[130:131], v[18:19]
	v_add_f64 v[16:17], v[130:131], v[16:17]
	v_dual_mov_b32 v143, v69 :: v_dual_mov_b32 v142, v68
	;; [unrolled: 3-line block ×3, first 2 shown]
	v_dual_mov_b32 v127, v53 :: v_dual_mov_b32 v126, v52
	s_delay_alu instid0(VALU_DEP_4) | instskip(NEXT) | instid1(VALU_DEP_4)
	v_add_f64 v[12:13], v[12:13], v[122:123]
	v_add_f64 v[14:15], v[14:15], v[120:121]
	v_dual_mov_b32 v121, v45 :: v_dual_mov_b32 v120, v44
	v_mul_f64 v[44:45], v[241:242], s[2:3]
	v_dual_mov_b32 v123, v49 :: v_dual_mov_b32 v122, v48
	v_add_f64 v[12:13], v[12:13], v[114:115]
	v_add_f64 v[14:15], v[14:15], v[112:113]
	s_delay_alu instid0(VALU_DEP_4) | instskip(NEXT) | instid1(VALU_DEP_3)
	v_add_f64 v[44:45], v[44:45], v[46:47]
	v_add_f64 v[114:115], v[12:13], v[118:119]
	v_mul_f64 v[12:13], v[2:3], s[42:43]
	s_delay_alu instid0(VALU_DEP_4)
	v_add_f64 v[112:113], v[14:15], v[116:117]
	scratch_load_b64 v[116:117], off, off offset:704 ; 8-byte Folded Reload
	v_add_f64 v[44:45], v[128:129], v[44:45]
	v_fma_f64 v[14:15], v[4:5], s[40:41], v[12:13]
	v_fma_f64 v[12:13], v[4:5], s[40:41], -v[12:13]
	v_fma_f64 v[4:5], v[4:5], s[30:31], -v[20:21]
	v_mul_f64 v[20:21], v[2:3], s[28:29]
	s_delay_alu instid0(VALU_DEP_4) | instskip(NEXT) | instid1(VALU_DEP_4)
	v_add_f64 v[14:15], v[130:131], v[14:15]
	v_add_f64 v[12:13], v[130:131], v[12:13]
	s_delay_alu instid0(VALU_DEP_4) | instskip(NEXT) | instid1(VALU_DEP_4)
	v_add_f64 v[46:47], v[130:131], v[4:5]
	v_add_f64 v[10:11], v[10:11], -v[20:21]
	v_mul_f64 v[20:21], v[241:242], s[26:27]
	s_delay_alu instid0(VALU_DEP_2) | instskip(NEXT) | instid1(VALU_DEP_2)
	v_add_f64 v[10:11], v[130:131], v[10:11]
	v_add_f64 v[8:9], v[20:21], v[8:9]
	v_mul_f64 v[20:21], v[2:3], s[24:25]
	v_mul_f64 v[2:3], v[2:3], s[16:17]
	s_delay_alu instid0(VALU_DEP_3) | instskip(NEXT) | instid1(VALU_DEP_3)
	v_add_f64 v[48:49], v[128:129], v[8:9]
	v_add_f64 v[6:7], v[6:7], -v[20:21]
	v_mul_f64 v[20:21], v[241:242], s[22:23]
	s_delay_alu instid0(VALU_DEP_4)
	v_add_f64 v[2:3], v[42:43], -v[2:3]
	v_mul_f64 v[8:9], v[215:216], s[52:53]
	v_fma_f64 v[42:43], v[241:242], s[30:31], -v[36:37]
	v_fma_f64 v[36:37], v[241:242], s[30:31], v[36:37]
	v_add_f64 v[50:51], v[130:131], v[6:7]
	v_add_f64 v[20:21], v[20:21], v[92:93]
	scratch_load_b64 v[92:93], off, off offset:728 ; 8-byte Folded Reload
	v_mul_f64 v[6:7], v[209:210], s[52:53]
	v_add_f64 v[52:53], v[130:131], v[2:3]
	v_fma_f64 v[4:5], v[201:202], s[2:3], -v[8:9]
	v_add_f64 v[42:43], v[128:129], v[42:43]
	v_add_f64 v[36:37], v[128:129], v[36:37]
	v_fma_f64 v[8:9], v[201:202], s[2:3], v[8:9]
	v_add_f64 v[20:21], v[128:129], v[20:21]
	v_fma_f64 v[2:3], v[213:214], s[2:3], v[6:7]
	v_fma_f64 v[6:7], v[213:214], s[2:3], -v[6:7]
	v_add_f64 v[4:5], v[4:5], v[38:39]
	v_add_f64 v[8:9], v[8:9], v[32:33]
	s_delay_alu instid0(VALU_DEP_4) | instskip(SKIP_2) | instid1(VALU_DEP_2)
	v_add_f64 v[2:3], v[2:3], v[14:15]
	v_mul_f64 v[14:15], v[221:222], s[38:39]
	v_add_f64 v[6:7], v[6:7], v[12:13]
	v_fma_f64 v[38:39], v[225:226], s[36:37], v[14:15]
	v_fma_f64 v[12:13], v[225:226], s[36:37], -v[14:15]
	v_fma_f64 v[14:15], v[235:236], s[22:23], v[74:75]
	s_waitcnt vmcnt(1)
	v_add_f64 v[28:29], v[116:117], -v[28:29]
	scratch_load_b64 v[116:117], off, off offset:696 ; 8-byte Folded Reload
	v_add_f64 v[2:3], v[38:39], v[2:3]
	v_mul_f64 v[38:39], v[227:228], s[38:39]
	v_add_f64 v[6:7], v[12:13], v[6:7]
	v_add_f64 v[28:29], v[130:131], v[28:29]
	s_delay_alu instid0(VALU_DEP_3) | instskip(NEXT) | instid1(VALU_DEP_1)
	v_fma_f64 v[12:13], v[205:206], s[36:37], v[38:39]
	v_add_f64 v[8:9], v[12:13], v[8:9]
	s_waitcnt vmcnt(1)
	v_add_f64 v[24:25], v[92:93], -v[24:25]
	scratch_load_b64 v[92:93], off, off offset:720 ; 8-byte Folded Reload
	v_add_f64 v[24:25], v[130:131], v[24:25]
	v_dual_mov_b32 v131, v57 :: v_dual_mov_b32 v130, v56
	s_waitcnt vmcnt(1)
	v_add_f64 v[30:31], v[30:31], v[116:117]
	s_delay_alu instid0(VALU_DEP_1) | instskip(SKIP_2) | instid1(VALU_DEP_1)
	v_add_f64 v[30:31], v[128:129], v[30:31]
	s_waitcnt vmcnt(0)
	v_add_f64 v[26:27], v[26:27], v[92:93]
	v_add_f64 v[26:27], v[128:129], v[26:27]
	v_dual_mov_b32 v129, v55 :: v_dual_mov_b32 v128, v54
	v_fma_f64 v[54:55], v[205:206], s[36:37], -v[38:39]
	v_mul_f64 v[38:39], v[221:222], s[24:25]
	s_delay_alu instid0(VALU_DEP_2) | instskip(SKIP_1) | instid1(VALU_DEP_1)
	v_add_f64 v[4:5], v[54:55], v[4:5]
	v_mul_f64 v[54:55], v[233:234], s[50:51]
	v_fma_f64 v[56:57], v[239:240], s[8:9], v[54:55]
	v_fma_f64 v[12:13], v[239:240], s[8:9], -v[54:55]
	s_delay_alu instid0(VALU_DEP_2) | instskip(SKIP_1) | instid1(VALU_DEP_3)
	v_add_f64 v[2:3], v[56:57], v[2:3]
	v_mul_f64 v[56:57], v[237:238], s[50:51]
	v_add_f64 v[6:7], v[12:13], v[6:7]
	s_delay_alu instid0(VALU_DEP_2) | instskip(SKIP_1) | instid1(VALU_DEP_2)
	v_fma_f64 v[58:59], v[217:218], s[8:9], -v[56:57]
	v_fma_f64 v[12:13], v[217:218], s[8:9], v[56:57]
	v_add_f64 v[4:5], v[58:59], v[4:5]
	v_mul_f64 v[58:59], v[251:252], s[34:35]
	s_delay_alu instid0(VALU_DEP_3) | instskip(NEXT) | instid1(VALU_DEP_2)
	v_add_f64 v[8:9], v[12:13], v[8:9]
	v_fma_f64 v[60:61], v[219:220], s[30:31], v[58:59]
	v_fma_f64 v[12:13], v[219:220], s[30:31], -v[58:59]
	s_delay_alu instid0(VALU_DEP_2) | instskip(SKIP_1) | instid1(VALU_DEP_3)
	v_add_f64 v[2:3], v[60:61], v[2:3]
	v_mul_f64 v[60:61], v[203:204], s[34:35]
	v_add_f64 v[6:7], v[12:13], v[6:7]
	s_delay_alu instid0(VALU_DEP_2) | instskip(SKIP_1) | instid1(VALU_DEP_2)
	v_fma_f64 v[62:63], v[229:230], s[30:31], -v[60:61]
	v_fma_f64 v[12:13], v[229:230], s[30:31], v[60:61]
	v_add_f64 v[4:5], v[62:63], v[4:5]
	v_mul_f64 v[62:63], v[223:224], s[46:47]
	s_delay_alu instid0(VALU_DEP_3) | instskip(NEXT) | instid1(VALU_DEP_2)
	v_add_f64 v[8:9], v[12:13], v[8:9]
	;; [unrolled: 13-line block ×3, first 2 shown]
	v_fma_f64 v[68:69], v[243:244], s[26:27], v[66:67]
	v_fma_f64 v[12:13], v[243:244], s[26:27], -v[66:67]
	s_delay_alu instid0(VALU_DEP_2) | instskip(SKIP_1) | instid1(VALU_DEP_3)
	v_add_f64 v[2:3], v[68:69], v[2:3]
	v_mul_f64 v[68:69], v[76:77], s[28:29]
	v_add_f64 v[6:7], v[12:13], v[6:7]
	s_delay_alu instid0(VALU_DEP_2) | instskip(SKIP_1) | instid1(VALU_DEP_2)
	v_fma_f64 v[12:13], v[207:208], s[26:27], v[68:69]
	v_fma_f64 v[70:71], v[207:208], s[26:27], -v[68:69]
	v_add_f64 v[12:13], v[12:13], v[8:9]
	v_fma_f64 v[8:9], v[78:79], s[22:23], -v[72:73]
	s_delay_alu instid0(VALU_DEP_3) | instskip(SKIP_1) | instid1(VALU_DEP_3)
	v_add_f64 v[70:71], v[70:71], v[4:5]
	v_fma_f64 v[4:5], v[78:79], s[22:23], v[72:73]
	v_add_f64 v[8:9], v[8:9], v[6:7]
	v_add_f64 v[6:7], v[14:15], v[12:13]
	v_mul_f64 v[12:13], v[209:210], s[46:47]
	s_delay_alu instid0(VALU_DEP_4) | instskip(SKIP_2) | instid1(VALU_DEP_4)
	v_add_f64 v[4:5], v[4:5], v[2:3]
	v_fma_f64 v[2:3], v[235:236], s[22:23], -v[74:75]
	v_mul_f64 v[74:75], v[233:234], s[42:43]
	v_fma_f64 v[14:15], v[213:214], s[18:19], v[12:13]
	v_fma_f64 v[12:13], v[213:214], s[18:19], -v[12:13]
	s_delay_alu instid0(VALU_DEP_4) | instskip(NEXT) | instid1(VALU_DEP_4)
	v_add_f64 v[2:3], v[2:3], v[70:71]
	v_add_f64 v[74:75], v[80:81], -v[74:75]
	v_mul_f64 v[80:81], v[221:222], s[34:35]
	v_add_f64 v[14:15], v[14:15], v[18:19]
	v_mul_f64 v[18:19], v[215:216], s[46:47]
	v_add_f64 v[12:13], v[12:13], v[16:17]
	s_delay_alu instid0(VALU_DEP_4) | instskip(SKIP_1) | instid1(VALU_DEP_4)
	v_add_f64 v[80:81], v[82:83], -v[80:81]
	v_mul_f64 v[82:83], v[209:210], s[24:25]
	v_fma_f64 v[32:33], v[201:202], s[18:19], -v[18:19]
	v_fma_f64 v[16:17], v[201:202], s[18:19], v[18:19]
	v_fma_f64 v[18:19], v[225:226], s[22:23], -v[38:39]
	s_delay_alu instid0(VALU_DEP_4)
	v_add_f64 v[82:83], v[84:85], -v[82:83]
	v_mul_f64 v[84:85], v[247:248], s[26:27]
	v_add_f64 v[32:33], v[32:33], v[40:41]
	v_fma_f64 v[40:41], v[225:226], s[22:23], v[38:39]
	v_add_f64 v[16:17], v[16:17], v[34:35]
	v_add_f64 v[12:13], v[18:19], v[12:13]
	;; [unrolled: 1-line block ×4, first 2 shown]
	v_mul_f64 v[86:87], v[229:230], s[36:37]
	v_mul_f64 v[82:83], v[217:218], s[40:41]
	v_add_f64 v[14:15], v[40:41], v[14:15]
	v_mul_f64 v[40:41], v[227:228], s[24:25]
	v_add_f64 v[28:29], v[80:81], v[28:29]
	;; [unrolled: 2-line block ×4, first 2 shown]
	v_fma_f64 v[54:55], v[205:206], s[22:23], -v[40:41]
	v_fma_f64 v[18:19], v[205:206], s[22:23], v[40:41]
	v_add_f64 v[28:29], v[74:75], v[28:29]
	v_mul_f64 v[74:75], v[207:208], s[18:19]
	v_add_f64 v[80:81], v[134:135], -v[80:81]
	v_add_f64 v[88:89], v[88:89], v[90:91]
	v_mul_f64 v[90:91], v[205:206], s[30:31]
	v_add_f64 v[32:33], v[54:55], v[32:33]
	v_mul_f64 v[54:55], v[233:234], s[58:59]
	v_add_f64 v[16:17], v[18:19], v[16:17]
	v_add_f64 v[74:75], v[74:75], v[126:127]
	;; [unrolled: 1-line block ×4, first 2 shown]
	v_fma_f64 v[56:57], v[239:240], s[30:31], v[54:55]
	v_fma_f64 v[18:19], v[239:240], s[30:31], -v[54:55]
	s_delay_alu instid0(VALU_DEP_3) | instskip(NEXT) | instid1(VALU_DEP_3)
	v_add_f64 v[30:31], v[90:91], v[30:31]
	v_add_f64 v[14:15], v[56:57], v[14:15]
	v_mul_f64 v[56:57], v[237:238], s[58:59]
	s_delay_alu instid0(VALU_DEP_4) | instskip(NEXT) | instid1(VALU_DEP_4)
	v_add_f64 v[12:13], v[18:19], v[12:13]
	v_add_f64 v[30:31], v[82:83], v[30:31]
	scratch_load_b64 v[82:83], off, off offset:528 ; 8-byte Folded Reload
	v_fma_f64 v[58:59], v[217:218], s[30:31], -v[56:57]
	v_fma_f64 v[18:19], v[217:218], s[30:31], v[56:57]
	v_add_f64 v[30:31], v[86:87], v[30:31]
	v_mul_f64 v[86:87], v[205:206], s[40:41]
	s_delay_alu instid0(VALU_DEP_4)
	v_add_f64 v[32:33], v[58:59], v[32:33]
	v_mul_f64 v[58:59], v[251:252], s[16:17]
	v_add_f64 v[16:17], v[18:19], v[16:17]
	v_add_f64 v[30:31], v[84:85], v[30:31]
	scratch_load_b64 v[84:85], off, off offset:376 ; 8-byte Folded Reload
	v_add_f64 v[86:87], v[86:87], v[130:131]
	v_fma_f64 v[60:61], v[219:220], s[2:3], v[58:59]
	v_fma_f64 v[18:19], v[219:220], s[2:3], -v[58:59]
	v_add_f64 v[30:31], v[74:75], v[30:31]
	v_mul_f64 v[74:75], v[209:210], s[34:35]
	s_delay_alu instid0(VALU_DEP_4) | instskip(SKIP_2) | instid1(VALU_DEP_4)
	v_add_f64 v[14:15], v[60:61], v[14:15]
	v_mul_f64 v[60:61], v[203:204], s[16:17]
	v_add_f64 v[12:13], v[18:19], v[12:13]
	v_add_f64 v[74:75], v[136:137], -v[74:75]
	s_delay_alu instid0(VALU_DEP_3) | instskip(SKIP_1) | instid1(VALU_DEP_3)
	v_fma_f64 v[62:63], v[229:230], s[2:3], -v[60:61]
	v_fma_f64 v[18:19], v[229:230], s[2:3], v[60:61]
	v_add_f64 v[24:25], v[74:75], v[24:25]
	v_mul_f64 v[74:75], v[217:218], s[26:27]
	s_delay_alu instid0(VALU_DEP_4) | instskip(SKIP_2) | instid1(VALU_DEP_4)
	v_add_f64 v[32:33], v[62:63], v[32:33]
	v_mul_f64 v[62:63], v[223:224], s[42:43]
	v_add_f64 v[16:17], v[18:19], v[16:17]
	v_add_f64 v[74:75], v[74:75], v[132:133]
	s_delay_alu instid0(VALU_DEP_3) | instskip(SKIP_1) | instid1(VALU_DEP_2)
	v_fma_f64 v[64:65], v[211:212], s[40:41], v[62:63]
	v_fma_f64 v[18:19], v[211:212], s[40:41], -v[62:63]
	v_add_f64 v[14:15], v[64:65], v[14:15]
	v_mul_f64 v[64:65], v[253:254], s[42:43]
	s_delay_alu instid0(VALU_DEP_3) | instskip(NEXT) | instid1(VALU_DEP_2)
	v_add_f64 v[12:13], v[18:19], v[12:13]
	v_fma_f64 v[66:67], v[247:248], s[40:41], -v[64:65]
	v_fma_f64 v[18:19], v[247:248], s[40:41], v[64:65]
	s_delay_alu instid0(VALU_DEP_2) | instskip(SKIP_1) | instid1(VALU_DEP_3)
	v_add_f64 v[32:33], v[66:67], v[32:33]
	v_mul_f64 v[66:67], v[249:250], s[50:51]
	v_add_f64 v[16:17], v[18:19], v[16:17]
	s_delay_alu instid0(VALU_DEP_2) | instskip(SKIP_1) | instid1(VALU_DEP_2)
	v_fma_f64 v[68:69], v[243:244], s[8:9], v[66:67]
	v_fma_f64 v[18:19], v[243:244], s[8:9], -v[66:67]
	v_add_f64 v[14:15], v[68:69], v[14:15]
	v_mul_f64 v[68:69], v[76:77], s[50:51]
	v_mul_f64 v[76:77], v[76:77], s[42:43]
	s_delay_alu instid0(VALU_DEP_4) | instskip(NEXT) | instid1(VALU_DEP_3)
	v_add_f64 v[12:13], v[18:19], v[12:13]
	v_fma_f64 v[70:71], v[207:208], s[8:9], -v[68:69]
	v_fma_f64 v[18:19], v[207:208], s[8:9], v[68:69]
	s_delay_alu instid0(VALU_DEP_2) | instskip(SKIP_1) | instid1(VALU_DEP_3)
	v_add_f64 v[32:33], v[70:71], v[32:33]
	v_mul_f64 v[70:71], v[231:232], s[28:29]
	v_add_f64 v[16:17], v[18:19], v[16:17]
	s_delay_alu instid0(VALU_DEP_2) | instskip(SKIP_1) | instid1(VALU_DEP_2)
	v_fma_f64 v[72:73], v[78:79], s[26:27], v[70:71]
	v_fma_f64 v[18:19], v[78:79], s[26:27], -v[70:71]
	v_add_f64 v[118:119], v[72:73], v[14:15]
	v_mul_f64 v[14:15], v[0:1], s[28:29]
	v_mul_f64 v[0:1], v[0:1], s[46:47]
	s_delay_alu instid0(VALU_DEP_2) | instskip(SKIP_1) | instid1(VALU_DEP_2)
	v_fma_f64 v[72:73], v[235:236], s[26:27], -v[14:15]
	v_fma_f64 v[14:15], v[235:236], s[26:27], v[14:15]
	v_add_f64 v[116:117], v[72:73], v[32:33]
	scratch_load_b64 v[72:73], off, off offset:384 ; 8-byte Folded Reload
	v_mul_f64 v[32:33], v[223:224], s[48:49]
	s_waitcnt vmcnt(0)
	s_delay_alu instid0(VALU_DEP_1) | instskip(SKIP_1) | instid1(VALU_DEP_1)
	v_add_f64 v[32:33], v[72:73], -v[32:33]
	v_mul_f64 v[72:73], v[251:252], s[44:45]
	v_add_f64 v[72:73], v[140:141], -v[72:73]
	v_add_f64 v[140:141], v[14:15], v[16:17]
	s_delay_alu instid0(VALU_DEP_2) | instskip(SKIP_1) | instid1(VALU_DEP_2)
	v_add_f64 v[28:29], v[72:73], v[28:29]
	v_mul_f64 v[72:73], v[231:232], s[52:53]
	v_add_f64 v[28:29], v[32:33], v[28:29]
	v_mul_f64 v[32:33], v[235:236], s[2:3]
	s_delay_alu instid0(VALU_DEP_3) | instskip(SKIP_1) | instid1(VALU_DEP_4)
	v_add_f64 v[72:73], v[142:143], -v[72:73]
	v_add_f64 v[142:143], v[18:19], v[12:13]
	v_add_f64 v[28:29], v[80:81], v[28:29]
	s_delay_alu instid0(VALU_DEP_4) | instskip(SKIP_1) | instid1(VALU_DEP_3)
	v_add_f64 v[32:33], v[32:33], v[128:129]
	v_mul_f64 v[80:81], v[247:248], s[2:3]
	v_add_f64 v[122:123], v[72:73], v[28:29]
	s_delay_alu instid0(VALU_DEP_3)
	v_add_f64 v[120:121], v[32:33], v[30:31]
	s_clause 0x2
	scratch_load_b64 v[30:31], off, off offset:632
	scratch_load_b64 v[32:33], off, off offset:560
	;; [unrolled: 1-line block ×3, first 2 shown]
	v_add_f64 v[80:81], v[80:81], v[82:83]
	v_mul_f64 v[82:83], v[229:230], s[8:9]
	v_mul_f64 v[28:29], v[223:224], s[16:17]
	s_delay_alu instid0(VALU_DEP_2) | instskip(SKIP_1) | instid1(VALU_DEP_1)
	v_add_f64 v[82:83], v[82:83], v[84:85]
	v_mul_f64 v[84:85], v[201:202], s[30:31]
	v_add_f64 v[84:85], v[84:85], v[124:125]
	s_delay_alu instid0(VALU_DEP_1) | instskip(SKIP_2) | instid1(VALU_DEP_1)
	v_add_f64 v[26:27], v[84:85], v[26:27]
	scratch_load_b64 v[84:85], off, off offset:400 ; 8-byte Folded Reload
	v_add_f64 v[26:27], v[86:87], v[26:27]
	v_add_f64 v[26:27], v[74:75], v[26:27]
	scratch_load_b64 v[74:75], off, off offset:344 ; 8-byte Folded Reload
	v_add_f64 v[26:27], v[82:83], v[26:27]
	v_mul_f64 v[82:83], v[205:206], s[26:27]
	s_delay_alu instid0(VALU_DEP_2) | instskip(NEXT) | instid1(VALU_DEP_2)
	v_add_f64 v[26:27], v[80:81], v[26:27]
	v_add_f64 v[82:83], v[82:83], v[172:173]
	scratch_load_b64 v[80:81], off, off offset:552 ; 8-byte Folded Reload
	s_waitcnt vmcnt(5)
	v_add_f64 v[28:29], v[30:31], -v[28:29]
	v_mul_f64 v[30:31], v[251:252], s[50:51]
	s_waitcnt vmcnt(4)
	s_delay_alu instid0(VALU_DEP_1) | instskip(SKIP_2) | instid1(VALU_DEP_1)
	v_add_f64 v[30:31], v[32:33], -v[30:31]
	v_mul_f64 v[32:33], v[233:234], s[48:49]
	s_waitcnt vmcnt(3)
	v_add_f64 v[32:33], v[72:73], -v[32:33]
	v_mul_f64 v[72:73], v[221:222], s[56:57]
	s_delay_alu instid0(VALU_DEP_1) | instskip(NEXT) | instid1(VALU_DEP_1)
	v_add_f64 v[72:73], v[170:171], -v[72:73]
	v_add_f64 v[24:25], v[72:73], v[24:25]
	v_mul_f64 v[72:73], v[249:250], s[24:25]
	s_delay_alu instid0(VALU_DEP_2) | instskip(SKIP_1) | instid1(VALU_DEP_2)
	v_add_f64 v[24:25], v[32:33], v[24:25]
	s_waitcnt vmcnt(2)
	v_add_f64 v[72:73], v[84:85], -v[72:73]
	v_mul_f64 v[32:33], v[207:208], s[22:23]
	s_delay_alu instid0(VALU_DEP_3) | instskip(SKIP_1) | instid1(VALU_DEP_2)
	v_add_f64 v[24:25], v[30:31], v[24:25]
	v_mul_f64 v[30:31], v[231:232], s[38:39]
	v_add_f64 v[24:25], v[28:29], v[24:25]
	v_mul_f64 v[28:29], v[235:236], s[36:37]
	s_delay_alu instid0(VALU_DEP_2)
	v_add_f64 v[24:25], v[72:73], v[24:25]
	scratch_load_b64 v[72:73], off, off offset:368 ; 8-byte Folded Reload
	s_waitcnt vmcnt(2)
	v_add_f64 v[32:33], v[32:33], v[74:75]
	scratch_load_b64 v[74:75], off, off offset:488 ; 8-byte Folded Reload
	v_add_f64 v[28:29], v[28:29], v[168:169]
	v_add_f64 v[26:27], v[32:33], v[26:27]
	scratch_load_b64 v[32:33], off, off offset:520 ; 8-byte Folded Reload
	v_add_f64 v[124:125], v[28:29], v[26:27]
	s_clause 0x1
	scratch_load_b64 v[26:27], off, off offset:672
	scratch_load_b64 v[28:29], off, off offset:640
	s_waitcnt vmcnt(3)
	v_add_f64 v[30:31], v[74:75], -v[30:31]
	scratch_load_b64 v[74:75], off, off offset:616 ; 8-byte Folded Reload
	v_add_f64 v[126:127], v[30:31], v[24:25]
	scratch_load_b64 v[30:31], off, off offset:576 ; 8-byte Folded Reload
	v_mul_f64 v[24:25], v[223:224], s[38:39]
	s_waitcnt vmcnt(3)
	s_delay_alu instid0(VALU_DEP_1) | instskip(SKIP_2) | instid1(VALU_DEP_1)
	v_add_f64 v[24:25], v[26:27], -v[24:25]
	v_mul_f64 v[26:27], v[251:252], s[20:21]
	s_waitcnt vmcnt(2)
	v_add_f64 v[26:27], v[28:29], -v[26:27]
	v_mul_f64 v[28:29], v[233:234], s[52:53]
	s_waitcnt vmcnt(0)
	s_delay_alu instid0(VALU_DEP_1) | instskip(SKIP_1) | instid1(VALU_DEP_1)
	v_add_f64 v[28:29], v[30:31], -v[28:29]
	v_mul_f64 v[30:31], v[221:222], s[48:49]
	v_add_f64 v[30:31], v[32:33], -v[30:31]
	v_mul_f64 v[32:33], v[209:210], s[42:43]
	s_delay_alu instid0(VALU_DEP_1) | instskip(SKIP_1) | instid1(VALU_DEP_2)
	v_add_f64 v[32:33], v[72:73], -v[32:33]
	v_mul_f64 v[72:73], v[247:248], s[36:37]
	v_add_f64 v[32:33], v[32:33], v[50:51]
	s_delay_alu instid0(VALU_DEP_2) | instskip(SKIP_2) | instid1(VALU_DEP_4)
	v_add_f64 v[72:73], v[72:73], v[74:75]
	v_mul_f64 v[74:75], v[229:230], s[18:19]
	v_mul_f64 v[50:51], v[217:218], s[2:3]
	v_add_f64 v[30:31], v[30:31], v[32:33]
	v_mul_f64 v[32:33], v[249:250], s[58:59]
	s_delay_alu instid0(VALU_DEP_4) | instskip(SKIP_1) | instid1(VALU_DEP_4)
	v_add_f64 v[74:75], v[74:75], v[80:81]
	v_mul_f64 v[80:81], v[201:202], s[40:41]
	v_add_f64 v[28:29], v[28:29], v[30:31]
	v_mul_f64 v[30:31], v[207:208], s[30:31]
	s_delay_alu instid0(VALU_DEP_3) | instskip(NEXT) | instid1(VALU_DEP_3)
	v_add_f64 v[80:81], v[80:81], v[138:139]
	v_add_f64 v[26:27], v[26:27], v[28:29]
	v_mul_f64 v[28:29], v[231:232], s[50:51]
	s_delay_alu instid0(VALU_DEP_3)
	v_add_f64 v[20:21], v[80:81], v[20:21]
	scratch_load_b64 v[80:81], off, off offset:360 ; 8-byte Folded Reload
	v_add_f64 v[24:25], v[24:25], v[26:27]
	v_mul_f64 v[26:27], v[235:236], s[8:9]
	v_add_f64 v[20:21], v[82:83], v[20:21]
	s_waitcnt vmcnt(0)
	v_add_f64 v[50:51], v[50:51], v[80:81]
	scratch_load_b64 v[80:81], off, off offset:584 ; 8-byte Folded Reload
	v_add_f64 v[20:21], v[50:51], v[20:21]
	s_delay_alu instid0(VALU_DEP_1)
	v_add_f64 v[20:21], v[74:75], v[20:21]
	scratch_load_b64 v[74:75], off, off offset:352 ; 8-byte Folded Reload
	v_add_f64 v[20:21], v[72:73], v[20:21]
	s_clause 0x1
	scratch_load_b64 v[72:73], off, off offset:624
	scratch_load_b64 v[50:51], off, off offset:544
	s_waitcnt vmcnt(3)
	v_add_f64 v[32:33], v[80:81], -v[32:33]
	s_delay_alu instid0(VALU_DEP_1)
	v_add_f64 v[24:25], v[32:33], v[24:25]
	s_clause 0x1
	scratch_load_b64 v[32:33], off, off offset:536
	scratch_load_b64 v[80:81], off, off offset:496
	s_waitcnt vmcnt(2)
	v_add_f64 v[30:31], v[30:31], v[50:51]
	scratch_load_b64 v[50:51], off, off offset:568 ; 8-byte Folded Reload
	v_add_f64 v[20:21], v[30:31], v[20:21]
	scratch_load_b64 v[30:31], off, off offset:600 ; 8-byte Folded Reload
	s_waitcnt vmcnt(1)
	v_add_f64 v[28:29], v[50:51], -v[28:29]
	scratch_load_b64 v[50:51], off, off offset:512 ; 8-byte Folded Reload
	v_add_f64 v[130:131], v[28:29], v[24:25]
	s_clause 0x1
	scratch_load_b64 v[24:25], off, off offset:688
	scratch_load_b64 v[28:29], off, off offset:648
	s_waitcnt vmcnt(2)
	v_add_f64 v[26:27], v[26:27], v[50:51]
	scratch_load_b64 v[50:51], off, off offset:664 ; 8-byte Folded Reload
	v_add_f64 v[128:129], v[26:27], v[20:21]
	scratch_load_b64 v[26:27], off, off offset:680 ; 8-byte Folded Reload
	v_mul_f64 v[20:21], v[223:224], s[54:55]
	s_waitcnt vmcnt(3)
	s_delay_alu instid0(VALU_DEP_1) | instskip(SKIP_2) | instid1(VALU_DEP_1)
	v_add_f64 v[20:21], v[24:25], -v[20:21]
	v_mul_f64 v[24:25], v[251:252], s[42:43]
	s_waitcnt vmcnt(0)
	v_add_f64 v[24:25], v[26:27], -v[24:25]
	v_mul_f64 v[26:27], v[233:234], s[20:21]
	s_delay_alu instid0(VALU_DEP_1) | instskip(SKIP_1) | instid1(VALU_DEP_1)
	v_add_f64 v[26:27], v[28:29], -v[26:27]
	v_mul_f64 v[28:29], v[221:222], s[50:51]
	v_add_f64 v[28:29], v[30:31], -v[28:29]
	v_mul_f64 v[30:31], v[209:210], s[44:45]
	s_delay_alu instid0(VALU_DEP_1) | instskip(SKIP_1) | instid1(VALU_DEP_2)
	v_add_f64 v[30:31], v[32:33], -v[30:31]
	v_mul_f64 v[32:33], v[247:248], s[22:23]
	v_add_f64 v[10:11], v[30:31], v[10:11]
	s_delay_alu instid0(VALU_DEP_2) | instskip(SKIP_1) | instid1(VALU_DEP_3)
	v_add_f64 v[32:33], v[32:33], v[50:51]
	v_mul_f64 v[50:51], v[229:230], s[40:41]
	v_add_f64 v[10:11], v[28:29], v[10:11]
	s_delay_alu instid0(VALU_DEP_2) | instskip(SKIP_1) | instid1(VALU_DEP_3)
	v_add_f64 v[50:51], v[50:51], v[72:73]
	;; [unrolled: 4-line block ×3, first 2 shown]
	v_mul_f64 v[74:75], v[205:206], s[8:9]
	v_add_f64 v[10:11], v[24:25], v[10:11]
	s_delay_alu instid0(VALU_DEP_3) | instskip(SKIP_4) | instid1(VALU_DEP_3)
	v_add_f64 v[30:31], v[72:73], v[48:49]
	scratch_load_b64 v[72:73], off, off offset:504 ; 8-byte Folded Reload
	v_add_f64 v[74:75], v[74:75], v[80:81]
	v_mul_f64 v[48:49], v[217:218], s[18:19]
	v_add_f64 v[10:11], v[20:21], v[10:11]
	v_add_f64 v[28:29], v[74:75], v[30:31]
	v_mul_f64 v[30:31], v[249:250], s[16:17]
	s_waitcnt vmcnt(0)
	s_delay_alu instid0(VALU_DEP_4)
	v_add_f64 v[48:49], v[48:49], v[72:73]
	scratch_load_b64 v[72:73], off, off offset:656 ; 8-byte Folded Reload
	v_add_f64 v[26:27], v[48:49], v[28:29]
	scratch_load_b64 v[48:49], off, off offset:608 ; 8-byte Folded Reload
	v_mul_f64 v[28:29], v[207:208], s[2:3]
	v_add_f64 v[24:25], v[50:51], v[26:27]
	v_mul_f64 v[26:27], v[231:232], s[34:35]
	s_delay_alu instid0(VALU_DEP_2)
	v_add_f64 v[20:21], v[32:33], v[24:25]
	scratch_load_b64 v[32:33], off, off offset:592 ; 8-byte Folded Reload
	v_add_f64 v[26:27], v[174:175], -v[26:27]
	v_mul_f64 v[24:25], v[235:236], s[30:31]
	s_waitcnt vmcnt(2)
	v_add_f64 v[30:31], v[72:73], -v[30:31]
	s_waitcnt vmcnt(1)
	v_add_f64 v[28:29], v[28:29], v[48:49]
	s_delay_alu instid0(VALU_DEP_2) | instskip(NEXT) | instid1(VALU_DEP_2)
	v_add_f64 v[10:11], v[30:31], v[10:11]
	v_add_f64 v[20:21], v[28:29], v[20:21]
	s_delay_alu instid0(VALU_DEP_2) | instskip(SKIP_4) | instid1(VALU_DEP_2)
	v_add_f64 v[134:135], v[26:27], v[10:11]
	v_mul_f64 v[10:11], v[209:210], s[48:49]
	v_mul_f64 v[28:29], v[221:222], s[16:17]
	s_waitcnt vmcnt(0)
	v_add_f64 v[24:25], v[24:25], v[32:33]
	v_fma_f64 v[30:31], v[225:226], s[2:3], -v[28:29]
	s_delay_alu instid0(VALU_DEP_2) | instskip(SKIP_3) | instid1(VALU_DEP_3)
	v_add_f64 v[132:133], v[24:25], v[20:21]
	v_fma_f64 v[20:21], v[213:214], s[26:27], -v[10:11]
	v_mul_f64 v[24:25], v[215:216], s[48:49]
	v_fma_f64 v[10:11], v[213:214], s[26:27], v[10:11]
	v_add_f64 v[20:21], v[20:21], v[46:47]
	s_delay_alu instid0(VALU_DEP_3) | instskip(NEXT) | instid1(VALU_DEP_3)
	v_fma_f64 v[26:27], v[201:202], s[26:27], v[24:25]
	v_add_f64 v[10:11], v[10:11], v[22:23]
	v_fma_f64 v[22:23], v[201:202], s[26:27], -v[24:25]
	scratch_load_b64 v[24:25], off, off offset:712 ; 8-byte Folded Reload
	v_add_f64 v[20:21], v[30:31], v[20:21]
	v_mul_f64 v[30:31], v[227:228], s[16:17]
	v_add_f64 v[26:27], v[26:27], v[36:37]
	v_add_f64 v[22:23], v[22:23], v[42:43]
	s_delay_alu instid0(VALU_DEP_3) | instskip(NEXT) | instid1(VALU_DEP_1)
	v_fma_f64 v[32:33], v[205:206], s[2:3], v[30:31]
	v_add_f64 v[26:27], v[32:33], v[26:27]
	v_mul_f64 v[32:33], v[233:234], s[38:39]
	s_delay_alu instid0(VALU_DEP_1) | instskip(SKIP_1) | instid1(VALU_DEP_2)
	v_fma_f64 v[36:37], v[239:240], s[36:37], -v[32:33]
	v_fma_f64 v[18:19], v[239:240], s[36:37], v[32:33]
	v_add_f64 v[20:21], v[36:37], v[20:21]
	v_mul_f64 v[36:37], v[237:238], s[38:39]
	s_delay_alu instid0(VALU_DEP_1) | instskip(NEXT) | instid1(VALU_DEP_1)
	v_fma_f64 v[46:47], v[217:218], s[36:37], v[36:37]
	v_add_f64 v[26:27], v[46:47], v[26:27]
	v_mul_f64 v[46:47], v[251:252], s[54:55]
	s_delay_alu instid0(VALU_DEP_1) | instskip(SKIP_1) | instid1(VALU_DEP_2)
	v_fma_f64 v[48:49], v[219:220], s[22:23], -v[46:47]
	v_fma_f64 v[16:17], v[219:220], s[22:23], v[46:47]
	v_add_f64 v[20:21], v[48:49], v[20:21]
	v_mul_f64 v[48:49], v[203:204], s[54:55]
	s_delay_alu instid0(VALU_DEP_1) | instskip(NEXT) | instid1(VALU_DEP_1)
	;; [unrolled: 9-line block ×3, first 2 shown]
	v_fma_f64 v[74:75], v[247:248], s[8:9], v[72:73]
	v_add_f64 v[26:27], v[74:75], v[26:27]
	v_mul_f64 v[74:75], v[249:250], s[42:43]
	s_delay_alu instid0(VALU_DEP_1) | instskip(SKIP_1) | instid1(VALU_DEP_2)
	v_fma_f64 v[80:81], v[243:244], s[40:41], -v[74:75]
	v_fma_f64 v[12:13], v[243:244], s[40:41], v[74:75]
	v_add_f64 v[20:21], v[80:81], v[20:21]
	v_fma_f64 v[80:81], v[207:208], s[40:41], v[76:77]
	s_delay_alu instid0(VALU_DEP_1) | instskip(SKIP_1) | instid1(VALU_DEP_1)
	v_add_f64 v[26:27], v[80:81], v[26:27]
	v_mul_f64 v[80:81], v[231:232], s[46:47]
	v_fma_f64 v[82:83], v[78:79], s[18:19], -v[80:81]
	s_delay_alu instid0(VALU_DEP_1) | instskip(SKIP_2) | instid1(VALU_DEP_2)
	v_add_f64 v[138:139], v[82:83], v[20:21]
	v_fma_f64 v[20:21], v[235:236], s[18:19], v[0:1]
	v_fma_f64 v[0:1], v[235:236], s[18:19], -v[0:1]
	v_add_f64 v[136:137], v[20:21], v[26:27]
	v_fma_f64 v[20:21], v[225:226], s[2:3], v[28:29]
	v_fma_f64 v[26:27], v[78:79], s[18:19], v[80:81]
	s_delay_alu instid0(VALU_DEP_2) | instskip(SKIP_1) | instid1(VALU_DEP_2)
	v_add_f64 v[10:11], v[20:21], v[10:11]
	v_fma_f64 v[20:21], v[205:206], s[2:3], -v[30:31]
	v_add_f64 v[10:11], v[18:19], v[10:11]
	s_delay_alu instid0(VALU_DEP_2) | instskip(SKIP_2) | instid1(VALU_DEP_4)
	v_add_f64 v[20:21], v[20:21], v[22:23]
	v_fma_f64 v[18:19], v[217:218], s[36:37], -v[36:37]
	v_mul_f64 v[22:23], v[201:202], s[8:9]
	v_add_f64 v[10:11], v[16:17], v[10:11]
	v_fma_f64 v[16:17], v[229:230], s[22:23], -v[48:49]
	s_delay_alu instid0(VALU_DEP_4) | instskip(SKIP_1) | instid1(VALU_DEP_4)
	v_add_f64 v[18:19], v[18:19], v[20:21]
	s_waitcnt vmcnt(0)
	v_add_f64 v[22:23], v[22:23], v[24:25]
	v_mul_f64 v[24:25], v[205:206], s[18:19]
	v_mul_f64 v[20:21], v[229:230], s[26:27]
	v_add_f64 v[10:11], v[14:15], v[10:11]
	v_fma_f64 v[14:15], v[247:248], s[8:9], -v[72:73]
	v_add_f64 v[16:17], v[16:17], v[18:19]
	v_add_f64 v[22:23], v[22:23], v[44:45]
	;; [unrolled: 1-line block ×4, first 2 shown]
	v_mul_f64 v[18:19], v[247:248], s[30:31]
	v_add_f64 v[10:11], v[12:13], v[10:11]
	v_fma_f64 v[12:13], v[207:208], s[40:41], -v[76:77]
	v_add_f64 v[14:15], v[14:15], v[16:17]
	v_mul_f64 v[16:17], v[209:210], s[10:11]
	v_add_f64 v[18:19], v[18:19], v[154:155]
	v_add_f64 v[78:79], v[26:27], v[10:11]
	v_mul_f64 v[10:11], v[251:252], s[28:29]
	v_add_f64 v[12:13], v[12:13], v[14:15]
	v_mul_f64 v[14:15], v[221:222], s[20:21]
	v_add_f64 v[16:17], v[144:145], -v[16:17]
	v_mul_f64 v[26:27], v[217:218], s[22:23]
	v_add_f64 v[10:11], v[156:157], -v[10:11]
	v_add_f64 v[76:77], v[0:1], v[12:13]
	v_mul_f64 v[12:13], v[233:234], s[24:25]
	v_add_f64 v[14:15], v[148:149], -v[14:15]
	v_add_f64 v[16:17], v[16:17], v[52:53]
	v_mul_f64 v[0:1], v[223:224], s[34:35]
	v_add_f64 v[26:27], v[26:27], v[146:147]
	v_add_f64 v[12:13], v[152:153], -v[12:13]
	s_delay_alu instid0(VALU_DEP_4) | instskip(SKIP_3) | instid1(VALU_DEP_4)
	v_add_f64 v[14:15], v[14:15], v[16:17]
	v_add_f64 v[16:17], v[24:25], v[22:23]
	v_add_f64 v[0:1], v[160:161], -v[0:1]
	v_mul_f64 v[22:23], v[249:250], s[38:39]
	v_add_f64 v[12:13], v[12:13], v[14:15]
	s_delay_alu instid0(VALU_DEP_4) | instskip(SKIP_1) | instid1(VALU_DEP_4)
	v_add_f64 v[14:15], v[26:27], v[16:17]
	v_mul_f64 v[16:17], v[207:208], s[36:37]
	v_add_f64 v[22:23], v[164:165], -v[22:23]
	s_delay_alu instid0(VALU_DEP_4) | instskip(NEXT) | instid1(VALU_DEP_4)
	v_add_f64 v[10:11], v[10:11], v[12:13]
	v_add_f64 v[12:13], v[20:21], v[14:15]
	v_mul_f64 v[14:15], v[231:232], s[42:43]
	v_add_f64 v[16:17], v[16:17], v[158:159]
	s_delay_alu instid0(VALU_DEP_4) | instskip(NEXT) | instid1(VALU_DEP_4)
	v_add_f64 v[0:1], v[0:1], v[10:11]
	v_add_f64 v[10:11], v[18:19], v[12:13]
	s_delay_alu instid0(VALU_DEP_4) | instskip(SKIP_1) | instid1(VALU_DEP_4)
	v_add_f64 v[14:15], v[166:167], -v[14:15]
	v_mul_f64 v[12:13], v[235:236], s[40:41]
	v_add_f64 v[0:1], v[22:23], v[0:1]
	s_delay_alu instid0(VALU_DEP_4) | instskip(NEXT) | instid1(VALU_DEP_3)
	v_add_f64 v[10:11], v[16:17], v[10:11]
	v_add_f64 v[12:13], v[12:13], v[162:163]
	s_delay_alu instid0(VALU_DEP_3)
	v_add_f64 v[146:147], v[14:15], v[0:1]
	s_clause 0x1
	scratch_load_b32 v0, off, off
	scratch_load_b32 v1, off, off offset:12
	v_add_f64 v[144:145], v[12:13], v[10:11]
	s_waitcnt vmcnt(1)
	v_mul_lo_u16 v0, v0, 17
	s_delay_alu instid0(VALU_DEP_1) | instskip(SKIP_1) | instid1(VALU_DEP_1)
	v_and_b32_e32 v0, 0xffff, v0
	s_waitcnt vmcnt(0)
	v_lshl_add_u32 v0, v0, 4, v1
	ds_store_b128 v0, v[120:123] offset:32
	ds_store_b128 v0, v[192:195] offset:192
	;; [unrolled: 1-line block ×15, first 2 shown]
	ds_store_b128 v0, v[112:115]
	ds_store_b128 v0, v[180:183] offset:256
.LBB0_17:
	s_or_b32 exec_lo, exec_lo, s1
	s_waitcnt lgkmcnt(0)
	s_barrier
	buffer_gl0_inv
	ds_load_b128 v[116:119], v255
	ds_load_b128 v[112:115], v255 offset:1632
	ds_load_b128 v[128:131], v255 offset:3536
	;; [unrolled: 1-line block ×11, first 2 shown]
	s_and_saveexec_b32 s1, s0
	s_cbranch_execz .LBB0_19
; %bb.18:
	ds_load_b128 v[192:195], v255 offset:3264
	ds_load_b128 v[196:199], v255 offset:6800
	ds_load_b128 v[188:191], v255 offset:10336
	ds_load_b128 v[184:187], v255 offset:13872
	ds_load_b128 v[180:183], v255 offset:17408
	ds_load_b128 v[0:3], v255 offset:20944
	s_waitcnt lgkmcnt(0)
	scratch_store_b128 off, v[0:3], off offset:16 ; 16-byte Folded Spill
.LBB0_19:
	s_or_b32 exec_lo, exec_lo, s1
	s_clause 0x8
	scratch_load_b128 v[44:47], off, off offset:64
	scratch_load_b128 v[48:51], off, off offset:32
	;; [unrolled: 1-line block ×9, first 2 shown]
	s_mov_b32 s2, 0xe8584caa
	s_mov_b32 s3, 0xbfebb67a
	;; [unrolled: 1-line block ×4, first 2 shown]
	s_waitcnt vmcnt(8) lgkmcnt(9)
	v_mul_f64 v[8:9], v[46:47], v[128:129]
	s_waitcnt vmcnt(7) lgkmcnt(8)
	v_mul_f64 v[14:15], v[50:51], v[120:121]
	v_mul_f64 v[30:31], v[50:51], v[122:123]
	scratch_load_b128 v[50:53], off, off offset:48 ; 16-byte Folded Reload
	s_waitcnt vmcnt(7) lgkmcnt(5)
	v_mul_f64 v[0:1], v[34:35], v[152:153]
	s_waitcnt vmcnt(6) lgkmcnt(1)
	v_mul_f64 v[2:3], v[38:39], v[156:157]
	v_mul_f64 v[10:11], v[34:35], v[154:155]
	;; [unrolled: 1-line block ×4, first 2 shown]
	s_waitcnt vmcnt(5)
	v_mul_f64 v[24:25], v[64:65], v[136:137]
	s_waitcnt vmcnt(4)
	v_mul_f64 v[28:29], v[60:61], v[140:141]
	;; [unrolled: 2-line block ×3, first 2 shown]
	s_waitcnt vmcnt(2) lgkmcnt(0)
	v_mul_f64 v[6:7], v[72:73], v[148:149]
	v_mul_f64 v[16:17], v[68:69], v[146:147]
	;; [unrolled: 1-line block ×3, first 2 shown]
	s_waitcnt vmcnt(1)
	v_mul_f64 v[34:35], v[56:57], v[126:127]
	v_mul_f64 v[22:23], v[64:65], v[138:139]
	s_waitcnt vmcnt(0)
	s_waitcnt_vscnt null, 0x0
	s_barrier
	buffer_gl0_inv
	v_mul_f64 v[26:27], v[60:61], v[142:143]
	v_fma_f64 v[8:9], v[44:45], v[130:131], -v[8:9]
	v_fma_f64 v[14:15], v[48:49], v[122:123], -v[14:15]
	v_fma_f64 v[30:31], v[48:49], v[120:121], v[30:31]
	v_fma_f64 v[0:1], v[32:33], v[154:155], -v[0:1]
	v_fma_f64 v[2:3], v[36:37], v[158:159], -v[2:3]
	v_fma_f64 v[10:11], v[32:33], v[152:153], v[10:11]
	v_fma_f64 v[12:13], v[36:37], v[156:157], v[12:13]
	v_mul_f64 v[36:37], v[56:57], v[124:125]
	v_fma_f64 v[24:25], v[62:63], v[138:139], -v[24:25]
	v_fma_f64 v[28:29], v[58:59], v[142:143], -v[28:29]
	v_fma_f64 v[20:21], v[44:45], v[128:129], v[20:21]
	v_fma_f64 v[4:5], v[66:67], v[146:147], -v[4:5]
	v_fma_f64 v[6:7], v[70:71], v[150:151], -v[6:7]
	v_fma_f64 v[16:17], v[66:67], v[144:145], v[16:17]
	v_fma_f64 v[18:19], v[70:71], v[148:149], v[18:19]
	;; [unrolled: 1-line block ×5, first 2 shown]
	v_add_f64 v[32:33], v[0:1], v[2:3]
	v_add_f64 v[56:57], v[0:1], -v[2:3]
	v_add_f64 v[44:45], v[10:11], v[12:13]
	v_add_f64 v[46:47], v[10:11], -v[12:13]
	v_fma_f64 v[36:37], v[54:55], v[126:127], -v[36:37]
	v_add_f64 v[54:55], v[24:25], v[28:29]
	v_add_f64 v[66:67], v[24:25], -v[28:29]
	v_add_f64 v[24:25], v[118:119], v[24:25]
	v_add_f64 v[10:11], v[20:21], v[10:11]
	;; [unrolled: 1-line block ×5, first 2 shown]
	v_add_f64 v[62:63], v[4:5], -v[6:7]
	v_add_f64 v[4:5], v[14:15], v[4:5]
	v_fma_f64 v[32:33], v[32:33], -0.5, v[8:9]
	v_add_f64 v[8:9], v[112:113], v[34:35]
	v_fma_f64 v[44:45], v[44:45], -0.5, v[20:21]
	v_add_f64 v[24:25], v[24:25], v[28:29]
	v_add_f64 v[10:11], v[10:11], v[12:13]
	;; [unrolled: 1-line block ×3, first 2 shown]
	v_fma_f64 v[42:43], v[42:43], -0.5, v[14:15]
	v_fma_f64 v[48:49], v[48:49], -0.5, v[30:31]
	v_fma_f64 v[58:59], v[46:47], s[8:9], v[32:33]
	v_fma_f64 v[32:33], v[46:47], s[2:3], v[32:33]
	v_add_f64 v[2:3], v[24:25], v[12:13]
	s_delay_alu instid0(VALU_DEP_4) | instskip(SKIP_4) | instid1(VALU_DEP_3)
	v_fma_f64 v[68:69], v[62:63], s[2:3], v[48:49]
	v_fma_f64 v[48:49], v[62:63], s[8:9], v[48:49]
	v_mul_f64 v[38:39], v[52:53], v[134:135]
	v_mul_f64 v[40:41], v[52:53], v[132:133]
	v_add_f64 v[52:53], v[22:23], v[26:27]
	v_fma_f64 v[38:39], v[50:51], v[132:133], v[38:39]
	s_delay_alu instid0(VALU_DEP_3)
	v_fma_f64 v[40:41], v[50:51], v[134:135], -v[40:41]
	v_add_f64 v[50:51], v[16:17], -v[18:19]
	v_add_f64 v[16:17], v[30:31], v[16:17]
	v_fma_f64 v[14:15], v[52:53], -0.5, v[116:117]
	v_fma_f64 v[30:31], v[54:55], -0.5, v[118:119]
	v_fma_f64 v[52:53], v[56:57], s[2:3], v[44:45]
	v_mul_f64 v[54:55], v[58:59], s[2:3]
	v_mul_f64 v[58:59], v[58:59], 0.5
	v_fma_f64 v[44:45], v[56:57], s[8:9], v[44:45]
	v_mul_f64 v[56:57], v[32:33], s[2:3]
	v_mul_f64 v[32:33], v[32:33], -0.5
	v_add_f64 v[46:47], v[34:35], v[38:39]
	v_add_f64 v[60:61], v[36:37], v[40:41]
	v_fma_f64 v[64:65], v[50:51], s[8:9], v[42:43]
	v_add_f64 v[16:17], v[16:17], v[18:19]
	v_add_f64 v[18:19], v[4:5], v[6:7]
	v_add_f64 v[6:7], v[24:25], -v[12:13]
	scratch_load_b32 v12, off, off offset:304 ; 4-byte Folded Reload
	v_fma_f64 v[42:43], v[50:51], s[2:3], v[42:43]
	v_add_f64 v[50:51], v[116:117], v[22:23]
	v_add_f64 v[22:23], v[22:23], -v[26:27]
	v_add_f64 v[20:21], v[36:37], -v[40:41]
	v_add_f64 v[36:37], v[114:115], v[36:37]
	v_add_f64 v[34:35], v[34:35], -v[38:39]
	v_add_f64 v[28:29], v[8:9], v[38:39]
	v_fma_f64 v[38:39], v[66:67], s[2:3], v[14:15]
	v_fma_f64 v[54:55], v[52:53], 0.5, v[54:55]
	v_fma_f64 v[52:53], v[52:53], s[8:9], v[58:59]
	v_fma_f64 v[14:15], v[66:67], s[8:9], v[14:15]
	v_fma_f64 v[56:57], v[44:45], -0.5, v[56:57]
	v_fma_f64 v[44:45], v[44:45], s[8:9], v[32:33]
	v_fma_f64 v[46:47], v[46:47], -0.5, v[112:113]
	v_fma_f64 v[60:61], v[60:61], -0.5, v[114:115]
	v_mul_f64 v[62:63], v[64:65], s[2:3]
	v_mul_f64 v[64:65], v[64:65], 0.5
	v_mul_f64 v[70:71], v[42:43], s[2:3]
	v_add_f64 v[26:27], v[50:51], v[26:27]
	v_fma_f64 v[50:51], v[22:23], s[2:3], v[30:31]
	v_mul_f64 v[42:43], v[42:43], -0.5
	v_add_f64 v[36:37], v[36:37], v[40:41]
	v_fma_f64 v[40:41], v[22:23], s[8:9], v[30:31]
	v_add_f64 v[8:9], v[28:29], v[16:17]
	v_add_f64 v[24:25], v[38:39], v[54:55]
	v_add_f64 v[32:33], v[38:39], -v[54:55]
	v_fma_f64 v[58:59], v[20:21], s[2:3], v[46:47]
	v_fma_f64 v[66:67], v[20:21], s[8:9], v[46:47]
	v_add_f64 v[20:21], v[28:29], -v[16:17]
	v_add_f64 v[28:29], v[14:15], v[56:57]
	v_fma_f64 v[72:73], v[34:35], s[8:9], v[60:61]
	v_fma_f64 v[60:61], v[34:35], s[2:3], v[60:61]
	v_fma_f64 v[62:63], v[68:69], 0.5, v[62:63]
	v_fma_f64 v[64:65], v[68:69], s[8:9], v[64:65]
	v_add_f64 v[0:1], v[26:27], v[10:11]
	v_add_f64 v[4:5], v[26:27], -v[10:11]
	v_add_f64 v[30:31], v[50:51], v[44:45]
	v_add_f64 v[10:11], v[36:37], v[18:19]
	;; [unrolled: 1-line block ×3, first 2 shown]
	v_add_f64 v[34:35], v[40:41], -v[52:53]
	v_add_f64 v[22:23], v[36:37], -v[18:19]
	;; [unrolled: 1-line block ×4, first 2 shown]
	v_fma_f64 v[70:71], v[48:49], -0.5, v[70:71]
	v_fma_f64 v[68:69], v[48:49], s[8:9], v[42:43]
	s_waitcnt vmcnt(0)
	ds_store_b128 v12, v[0:3]
	ds_store_b128 v12, v[24:27] offset:272
	ds_store_b128 v12, v[28:31] offset:544
	ds_store_b128 v12, v[4:7] offset:816
	ds_store_b128 v12, v[32:35] offset:1088
	ds_store_b128 v12, v[36:39] offset:1360
	scratch_load_b32 v0, off, off offset:296 ; 4-byte Folded Reload
	v_add_f64 v[40:41], v[58:59], v[62:63]
	v_add_f64 v[42:43], v[72:73], v[64:65]
	v_add_f64 v[44:45], v[66:67], v[70:71]
	v_add_f64 v[46:47], v[60:61], v[68:69]
	v_add_f64 v[48:49], v[58:59], -v[62:63]
	v_add_f64 v[50:51], v[72:73], -v[64:65]
	;; [unrolled: 1-line block ×4, first 2 shown]
	s_waitcnt vmcnt(0)
	ds_store_b128 v0, v[8:11]
	ds_store_b128 v0, v[40:43] offset:272
	ds_store_b128 v0, v[44:47] offset:544
	;; [unrolled: 1-line block ×5, first 2 shown]
	s_and_saveexec_b32 s1, s0
	s_cbranch_execz .LBB0_21
; %bb.20:
	s_clause 0x3
	scratch_load_b128 v[20:23], off, off offset:408
	scratch_load_b128 v[26:29], off, off offset:440
	;; [unrolled: 1-line block ×4, first 2 shown]
	s_waitcnt vmcnt(3)
	v_mul_f64 v[0:1], v[22:23], v[184:185]
	v_mul_f64 v[4:5], v[22:23], v[186:187]
	scratch_load_b128 v[22:25], off, off offset:424 ; 16-byte Folded Reload
	s_waitcnt vmcnt(2)
	v_mul_f64 v[2:3], v[28:29], v[36:37]
	v_mul_f64 v[6:7], v[28:29], v[38:39]
	scratch_load_b128 v[28:31], off, off offset:456 ; 16-byte Folded Reload
	s_waitcnt vmcnt(2)
	v_mul_f64 v[10:11], v[34:35], v[188:189]
	v_mul_f64 v[14:15], v[34:35], v[190:191]
	v_fma_f64 v[0:1], v[20:21], v[186:187], -v[0:1]
	v_fma_f64 v[4:5], v[20:21], v[184:185], v[4:5]
	v_fma_f64 v[2:3], v[26:27], v[38:39], -v[2:3]
	v_fma_f64 v[6:7], v[26:27], v[36:37], v[6:7]
	;; [unrolled: 2-line block ×3, first 2 shown]
	s_delay_alu instid0(VALU_DEP_4) | instskip(NEXT) | instid1(VALU_DEP_3)
	v_add_f64 v[20:21], v[0:1], v[2:3]
	v_add_f64 v[34:35], v[194:195], v[10:11]
	s_waitcnt vmcnt(1)
	v_mul_f64 v[8:9], v[24:25], v[196:197]
	v_mul_f64 v[18:19], v[24:25], v[198:199]
	v_add_f64 v[24:25], v[4:5], -v[6:7]
	s_waitcnt vmcnt(0)
	v_mul_f64 v[12:13], v[30:31], v[180:181]
	v_mul_f64 v[16:17], v[30:31], v[182:183]
	v_fma_f64 v[8:9], v[22:23], v[198:199], -v[8:9]
	v_fma_f64 v[18:19], v[22:23], v[196:197], v[18:19]
	v_add_f64 v[22:23], v[4:5], v[6:7]
	v_fma_f64 v[12:13], v[28:29], v[182:183], -v[12:13]
	v_fma_f64 v[16:17], v[28:29], v[180:181], v[16:17]
	v_add_f64 v[28:29], v[0:1], -v[2:3]
	v_fma_f64 v[20:21], v[20:21], -0.5, v[8:9]
	v_add_f64 v[0:1], v[8:9], v[0:1]
	v_fma_f64 v[22:23], v[22:23], -0.5, v[18:19]
	v_add_f64 v[26:27], v[10:11], v[12:13]
	v_add_f64 v[30:31], v[14:15], v[16:17]
	v_add_f64 v[8:9], v[10:11], -v[12:13]
	v_add_f64 v[10:11], v[192:193], v[14:15]
	v_add_f64 v[4:5], v[18:19], v[4:5]
	;; [unrolled: 1-line block ×3, first 2 shown]
	v_fma_f64 v[32:33], v[24:25], s[2:3], v[20:21]
	v_fma_f64 v[20:21], v[24:25], s[8:9], v[20:21]
	v_add_f64 v[24:25], v[14:15], -v[16:17]
	v_fma_f64 v[14:15], v[26:27], -0.5, v[194:195]
	v_fma_f64 v[26:27], v[28:29], s[8:9], v[22:23]
	v_fma_f64 v[22:23], v[28:29], s[2:3], v[22:23]
	v_fma_f64 v[18:19], v[30:31], -0.5, v[192:193]
	v_add_f64 v[10:11], v[10:11], v[16:17]
	v_add_f64 v[34:35], v[0:1], v[2:3]
	;; [unrolled: 1-line block ×3, first 2 shown]
	v_mul_f64 v[30:31], v[32:33], -0.5
	v_mul_f64 v[28:29], v[20:21], 0.5
	v_mul_f64 v[20:21], v[20:21], s[2:3]
	v_fma_f64 v[16:17], v[24:25], s[2:3], v[14:15]
	v_fma_f64 v[24:25], v[24:25], s[8:9], v[14:15]
	v_mul_f64 v[32:33], v[32:33], s[2:3]
	v_fma_f64 v[36:37], v[8:9], s[8:9], v[18:19]
	v_fma_f64 v[8:9], v[8:9], s[2:3], v[18:19]
	v_add_f64 v[6:7], v[12:13], v[34:35]
	v_add_f64 v[0:1], v[10:11], -v[4:5]
	v_add_f64 v[4:5], v[10:11], v[4:5]
	v_add_f64 v[2:3], v[12:13], -v[34:35]
	v_fma_f64 v[14:15], v[26:27], s[8:9], v[30:31]
	v_fma_f64 v[28:29], v[22:23], s[8:9], v[28:29]
	v_fma_f64 v[20:21], v[22:23], 0.5, v[20:21]
	v_fma_f64 v[26:27], v[26:27], -0.5, v[32:33]
	s_delay_alu instid0(VALU_DEP_4) | instskip(NEXT) | instid1(VALU_DEP_4)
	v_add_f64 v[10:11], v[16:17], -v[14:15]
	v_add_f64 v[18:19], v[24:25], v[28:29]
	v_add_f64 v[22:23], v[24:25], -v[28:29]
	s_clause 0x1
	scratch_load_b32 v24, off, off offset:12
	scratch_load_b32 v25, off, off offset:256
	v_add_f64 v[14:15], v[16:17], v[14:15]
	v_add_f64 v[16:17], v[8:9], v[20:21]
	;; [unrolled: 1-line block ×3, first 2 shown]
	v_add_f64 v[20:21], v[8:9], -v[20:21]
	v_add_f64 v[8:9], v[36:37], -v[26:27]
	s_waitcnt vmcnt(0)
	v_lshl_add_u32 v24, v25, 4, v24
	ds_store_b128 v24, v[4:7] offset:19584
	ds_store_b128 v24, v[16:19] offset:19856
	;; [unrolled: 1-line block ×6, first 2 shown]
.LBB0_21:
	s_or_b32 exec_lo, exec_lo, s1
	s_waitcnt lgkmcnt(0)
	s_barrier
	buffer_gl0_inv
	ds_load_b128 v[4:7], v255 offset:1632
	ds_load_b128 v[10:13], v255 offset:19584
	;; [unrolled: 1-line block ×4, first 2 shown]
	ds_load_b128 v[0:3], v255
	ds_load_b128 v[22:25], v255 offset:4896
	scratch_load_b128 v[112:115], off, off offset:160 ; 16-byte Folded Reload
	ds_load_b128 v[26:29], v255 offset:16320
	ds_load_b128 v[30:33], v255 offset:6528
	;; [unrolled: 1-line block ×3, first 2 shown]
	s_mov_b32 s8, 0x4267c47c
	s_mov_b32 s10, 0xe00740e9
	;; [unrolled: 1-line block ×19, first 2 shown]
	s_waitcnt lgkmcnt(0)
	v_mul_f64 v[80:81], v[102:103], v[36:37]
	v_mul_f64 v[86:87], v[102:103], v[34:35]
	s_mov_b32 s39, 0xbfe7f3cc
	s_mov_b32 s42, 0x4bc48dbf
	;; [unrolled: 1-line block ×17, first 2 shown]
	s_waitcnt vmcnt(0)
	v_mul_f64 v[8:9], v[114:115], v[6:7]
	v_mul_f64 v[50:51], v[114:115], v[4:5]
	scratch_load_b128 v[114:117], off, off offset:208 ; 16-byte Folded Reload
	ds_load_b128 v[38:41], v255 offset:9792
	ds_load_b128 v[42:45], v255 offset:11424
	;; [unrolled: 1-line block ×4, first 2 shown]
	s_clause 0x3
	scratch_load_b128 v[126:129], off, off offset:264
	scratch_load_b128 v[132:135], off, off offset:312
	;; [unrolled: 1-line block ×4, first 2 shown]
	s_waitcnt lgkmcnt(3)
	v_mul_f64 v[88:89], v[98:99], v[40:41]
	v_mul_f64 v[94:95], v[98:99], v[38:39]
	s_waitcnt lgkmcnt(2)
	v_mul_f64 v[98:99], v[106:107], v[44:45]
	v_mul_f64 v[102:103], v[106:107], v[42:43]
	;; [unrolled: 3-line block ×3, first 2 shown]
	v_fma_f64 v[106:107], v[112:113], v[4:5], v[8:9]
	v_fma_f64 v[50:51], v[112:113], v[6:7], -v[50:51]
	s_waitcnt vmcnt(4)
	v_mul_f64 v[52:53], v[116:117], v[10:11]
	v_mul_f64 v[66:67], v[116:117], v[12:13]
	s_waitcnt vmcnt(3)
	v_mul_f64 v[64:65], v[128:129], v[24:25]
	v_mul_f64 v[68:69], v[128:129], v[22:23]
	scratch_load_b128 v[128:131], off, off offset:280 ; 16-byte Folded Reload
	s_waitcnt vmcnt(3)
	v_mul_f64 v[72:73], v[134:135], v[32:33]
	v_mul_f64 v[78:79], v[134:135], v[30:31]
	scratch_load_b128 v[134:137], off, off offset:328 ; 16-byte Folded Reload
	s_waitcnt vmcnt(3)
	v_mul_f64 v[58:59], v[120:121], v[14:15]
	v_mul_f64 v[62:63], v[120:121], v[16:17]
	s_waitcnt vmcnt(2)
	v_mul_f64 v[60:61], v[124:125], v[18:19]
	v_mul_f64 v[70:71], v[124:125], v[20:21]
	v_fma_f64 v[4:5], v[114:115], v[12:13], -v[52:53]
	v_fma_f64 v[6:7], v[114:115], v[10:11], v[66:67]
	v_fma_f64 v[52:53], v[118:119], v[16:17], -v[58:59]
	v_fma_f64 v[58:59], v[118:119], v[14:15], v[62:63]
	;; [unrolled: 2-line block ×4, first 2 shown]
	v_fma_f64 v[22:23], v[108:109], v[46:47], v[90:91]
	v_fma_f64 v[24:25], v[104:105], v[44:45], -v[102:103]
	v_fma_f64 v[20:21], v[108:109], v[48:49], -v[92:93]
	v_add_f64 v[44:45], v[50:51], -v[4:5]
	v_add_f64 v[46:47], v[50:51], v[4:5]
	v_add_f64 v[48:49], v[52:53], -v[8:9]
	v_add_f64 v[64:65], v[58:59], v[10:11]
	v_add_f64 v[66:67], v[58:59], -v[10:11]
	v_mul_f64 v[108:109], v[44:45], s[28:29]
	v_mul_f64 v[102:103], v[46:47], s[16:17]
	;; [unrolled: 1-line block ×8, first 2 shown]
	s_delay_alu instid0(VALU_DEP_2) | instskip(SKIP_1) | instid1(VALU_DEP_3)
	v_fma_f64 v[205:206], v[64:65], s[30:31], v[120:121]
	v_fma_f64 v[120:121], v[64:65], s[30:31], -v[120:121]
	v_fma_f64 v[209:210], v[64:65], s[44:45], v[124:125]
	v_fma_f64 v[124:125], v[64:65], s[44:45], -v[124:125]
	s_waitcnt vmcnt(1)
	v_mul_f64 v[74:75], v[130:131], v[28:29]
	v_mul_f64 v[76:77], v[130:131], v[26:27]
	s_waitcnt vmcnt(0) lgkmcnt(0)
	v_mul_f64 v[82:83], v[136:137], v[56:57]
	v_mul_f64 v[84:85], v[136:137], v[54:55]
	s_delay_alu instid0(VALU_DEP_4) | instskip(NEXT) | instid1(VALU_DEP_4)
	v_fma_f64 v[14:15], v[128:129], v[26:27], v[74:75]
	v_fma_f64 v[12:13], v[128:129], v[28:29], -v[76:77]
	v_fma_f64 v[28:29], v[132:133], v[30:31], v[72:73]
	v_fma_f64 v[30:31], v[132:133], v[32:33], -v[78:79]
	;; [unrolled: 2-line block ×4, first 2 shown]
	v_fma_f64 v[26:27], v[104:105], v[42:43], v[98:99]
	v_add_f64 v[40:41], v[0:1], v[106:107]
	v_add_f64 v[42:43], v[2:3], v[50:51]
	v_fma_f64 v[18:19], v[134:135], v[54:55], v[82:83]
	v_fma_f64 v[16:17], v[134:135], v[56:57], -v[84:85]
	v_add_f64 v[50:51], v[52:53], v[8:9]
	v_add_f64 v[54:55], v[106:107], v[6:7]
	v_add_f64 v[56:57], v[106:107], -v[6:7]
	v_mul_f64 v[98:99], v[46:47], s[10:11]
	v_mul_f64 v[100:101], v[44:45], s[2:3]
	;; [unrolled: 1-line block ×8, first 2 shown]
	v_add_f64 v[68:69], v[60:61], v[14:15]
	v_add_f64 v[70:71], v[62:63], v[12:13]
	v_add_f64 v[74:75], v[62:63], -v[12:13]
	v_add_f64 v[72:73], v[60:61], -v[14:15]
	v_add_f64 v[84:85], v[32:33], v[22:23]
	v_add_f64 v[86:87], v[34:35], v[20:21]
	v_add_f64 v[88:89], v[32:33], -v[22:23]
	v_add_f64 v[96:97], v[38:39], -v[24:25]
	v_add_f64 v[92:93], v[36:37], v[26:27]
	v_add_f64 v[40:41], v[40:41], v[58:59]
	;; [unrolled: 1-line block ×5, first 2 shown]
	v_add_f64 v[80:81], v[28:29], -v[18:19]
	v_add_f64 v[82:83], v[30:31], -v[16:17]
	v_mul_f64 v[52:53], v[44:45], s[8:9]
	v_mul_f64 v[44:45], v[44:45], s[42:43]
	;; [unrolled: 1-line block ×4, first 2 shown]
	v_fma_f64 v[186:187], v[56:57], s[0:1], v[98:99]
	v_fma_f64 v[98:99], v[56:57], s[8:9], v[98:99]
	;; [unrolled: 1-line block ×4, first 2 shown]
	v_mul_f64 v[126:127], v[50:51], s[44:45]
	v_fma_f64 v[100:101], v[54:55], s[16:17], -v[100:101]
	v_fma_f64 v[192:193], v[54:55], s[22:23], v[104:105]
	v_fma_f64 v[194:195], v[56:57], s[24:25], v[106:107]
	v_mul_f64 v[130:131], v[50:51], s[38:39]
	v_fma_f64 v[102:103], v[56:57], s[2:3], v[102:103]
	v_fma_f64 v[104:105], v[54:55], s[22:23], -v[104:105]
	v_fma_f64 v[106:107], v[56:57], s[20:21], v[106:107]
	v_fma_f64 v[196:197], v[54:55], s[30:31], v[108:109]
	;; [unrolled: 1-line block ×3, first 2 shown]
	v_mul_f64 v[134:135], v[50:51], s[22:23]
	v_fma_f64 v[201:202], v[56:57], s[40:41], v[114:115]
	v_mul_f64 v[50:51], v[50:51], s[10:11]
	v_fma_f64 v[203:204], v[56:57], s[36:37], v[46:47]
	v_fma_f64 v[108:109], v[54:55], s[30:31], -v[108:109]
	v_fma_f64 v[114:115], v[56:57], s[26:27], v[114:115]
	v_fma_f64 v[46:47], v[56:57], s[42:43], v[46:47]
	v_mul_f64 v[136:137], v[74:75], s[20:21]
	v_mul_f64 v[138:139], v[70:71], s[22:23]
	;; [unrolled: 1-line block ×7, first 2 shown]
	v_add_f64 v[40:41], v[40:41], v[60:61]
	v_add_f64 v[42:43], v[42:43], v[62:63]
	v_mul_f64 v[150:151], v[70:71], s[10:11]
	v_fma_f64 v[213:214], v[64:65], s[38:39], v[128:129]
	v_mul_f64 v[152:153], v[74:75], s[2:3]
	v_mul_f64 v[60:61], v[70:71], s[16:17]
	v_fma_f64 v[184:185], v[54:55], s[10:11], v[52:53]
	v_fma_f64 v[52:53], v[54:55], s[10:11], -v[52:53]
	v_fma_f64 v[217:218], v[64:65], s[22:23], v[132:133]
	v_fma_f64 v[207:208], v[66:67], s[34:35], v[122:123]
	;; [unrolled: 1-line block ×3, first 2 shown]
	v_add_f64 v[98:99], v[2:3], v[98:99]
	v_add_f64 v[188:189], v[0:1], v[188:189]
	;; [unrolled: 1-line block ×3, first 2 shown]
	v_fma_f64 v[211:212], v[66:67], s[36:37], v[126:127]
	v_add_f64 v[100:101], v[0:1], v[100:101]
	v_add_f64 v[192:193], v[0:1], v[192:193]
	;; [unrolled: 1-line block ×3, first 2 shown]
	v_fma_f64 v[126:127], v[66:67], s[42:43], v[126:127]
	v_fma_f64 v[215:216], v[66:67], s[26:27], v[130:131]
	v_add_f64 v[102:103], v[2:3], v[102:103]
	v_add_f64 v[104:105], v[0:1], v[104:105]
	;; [unrolled: 1-line block ×5, first 2 shown]
	v_fma_f64 v[130:131], v[66:67], s[40:41], v[130:131]
	v_fma_f64 v[219:220], v[66:67], s[20:21], v[134:135]
	v_add_f64 v[201:202], v[2:3], v[201:202]
	v_mul_f64 v[74:75], v[74:75], s[26:27]
	v_mul_f64 v[70:71], v[70:71], s[38:39]
	v_fma_f64 v[132:133], v[64:65], s[22:23], -v[132:133]
	v_fma_f64 v[221:222], v[64:65], s[10:11], v[48:49]
	v_fma_f64 v[223:224], v[66:67], s[8:9], v[50:51]
	v_add_f64 v[203:204], v[2:3], v[203:204]
	v_fma_f64 v[48:49], v[64:65], s[10:11], -v[48:49]
	v_fma_f64 v[50:51], v[66:67], s[0:1], v[50:51]
	v_add_f64 v[186:187], v[2:3], v[186:187]
	v_add_f64 v[108:109], v[0:1], v[108:109]
	;; [unrolled: 1-line block ×4, first 2 shown]
	v_fma_f64 v[40:41], v[56:57], s[28:29], v[110:111]
	v_fma_f64 v[110:111], v[54:55], s[38:39], v[112:113]
	v_fma_f64 v[112:113], v[54:55], s[38:39], -v[112:113]
	v_fma_f64 v[42:43], v[54:55], s[44:45], v[44:45]
	v_fma_f64 v[44:45], v[54:55], s[44:45], -v[44:45]
	v_fma_f64 v[54:55], v[64:65], s[16:17], v[116:117]
	v_fma_f64 v[56:57], v[66:67], s[18:19], v[118:119]
	;; [unrolled: 1-line block ×3, first 2 shown]
	v_add_f64 v[184:185], v[0:1], v[184:185]
	v_fma_f64 v[116:117], v[64:65], s[16:17], -v[116:117]
	v_add_f64 v[52:53], v[0:1], v[52:53]
	v_add_f64 v[114:115], v[2:3], v[114:115]
	v_fma_f64 v[134:135], v[66:67], s[24:25], v[134:135]
	v_fma_f64 v[128:129], v[64:65], s[38:39], -v[128:129]
	v_add_f64 v[58:59], v[38:39], v[24:25]
	v_add_f64 v[94:95], v[36:37], -v[26:27]
	v_add_f64 v[90:91], v[34:35], -v[20:21]
	v_mul_f64 v[154:155], v[82:83], s[28:29]
	v_mul_f64 v[62:63], v[82:83], s[40:41]
	v_mul_f64 v[158:159], v[78:79], s[38:39]
	v_fma_f64 v[64:65], v[68:69], s[22:23], v[136:137]
	v_fma_f64 v[66:67], v[72:73], s[24:25], v[138:139]
	;; [unrolled: 1-line block ×3, first 2 shown]
	v_add_f64 v[188:189], v[205:206], v[188:189]
	v_add_f64 v[190:191], v[207:208], v[190:191]
	v_mul_f64 v[160:161], v[82:83], s[0:1]
	v_mul_f64 v[162:163], v[78:79], s[10:11]
	v_fma_f64 v[136:137], v[68:69], s[22:23], -v[136:137]
	v_fma_f64 v[227:228], v[72:73], s[28:29], v[146:147]
	v_add_f64 v[100:101], v[120:121], v[100:101]
	v_add_f64 v[192:193], v[209:210], v[192:193]
	v_add_f64 v[194:195], v[211:212], v[194:195]
	v_mul_f64 v[156:157], v[78:79], s[30:31]
	v_mul_f64 v[164:165], v[82:83], s[20:21]
	;; [unrolled: 1-line block ×4, first 2 shown]
	v_add_f64 v[28:29], v[28:29], v[32:33]
	v_add_f64 v[30:31], v[30:31], v[34:35]
	v_add_f64 v[40:41], v[2:3], v[40:41]
	v_add_f64 v[110:111], v[0:1], v[110:111]
	v_add_f64 v[112:113], v[0:1], v[112:113]
	v_add_f64 v[42:43], v[0:1], v[42:43]
	v_add_f64 v[0:1], v[0:1], v[44:45]
	v_add_f64 v[2:3], v[2:3], v[46:47]
	v_fma_f64 v[32:33], v[72:73], s[20:21], v[138:139]
	v_fma_f64 v[138:139], v[68:69], s[44:45], v[140:141]
	v_add_f64 v[54:55], v[54:55], v[184:185]
	v_add_f64 v[98:99], v[118:119], v[98:99]
	v_fma_f64 v[140:141], v[68:69], s[44:45], -v[140:141]
	v_fma_f64 v[34:35], v[68:69], s[30:31], v[144:145]
	v_add_f64 v[52:53], v[116:117], v[52:53]
	v_mul_f64 v[170:171], v[78:79], s[44:45]
	v_mul_f64 v[82:83], v[82:83], s[18:19]
	;; [unrolled: 1-line block ×3, first 2 shown]
	v_fma_f64 v[142:143], v[72:73], s[42:43], v[142:143]
	v_fma_f64 v[144:145], v[68:69], s[30:31], -v[144:145]
	v_fma_f64 v[146:147], v[72:73], s[34:35], v[146:147]
	v_fma_f64 v[229:230], v[68:69], s[10:11], v[148:149]
	;; [unrolled: 1-line block ×3, first 2 shown]
	v_add_f64 v[102:103], v[122:123], v[102:103]
	v_add_f64 v[104:105], v[124:125], v[104:105]
	;; [unrolled: 1-line block ×5, first 2 shown]
	v_fma_f64 v[150:151], v[72:73], s[0:1], v[150:151]
	v_fma_f64 v[233:234], v[68:69], s[16:17], v[152:153]
	;; [unrolled: 1-line block ×3, first 2 shown]
	v_add_f64 v[201:202], v[219:220], v[201:202]
	v_fma_f64 v[152:153], v[68:69], s[16:17], -v[152:153]
	v_fma_f64 v[237:238], v[68:69], s[38:39], v[74:75]
	v_fma_f64 v[239:240], v[72:73], s[40:41], v[70:71]
	v_fma_f64 v[148:149], v[68:69], s[10:11], -v[148:149]
	v_fma_f64 v[68:69], v[68:69], s[38:39], -v[74:75]
	v_fma_f64 v[70:71], v[72:73], s[26:27], v[70:71]
	v_add_f64 v[28:29], v[28:29], v[36:37]
	v_add_f64 v[30:31], v[30:31], v[38:39]
	;; [unrolled: 1-line block ×9, first 2 shown]
	v_fma_f64 v[60:61], v[72:73], s[2:3], v[60:61]
	v_add_f64 v[48:49], v[134:135], v[114:115]
	v_add_f64 v[108:109], v[128:129], v[108:109]
	;; [unrolled: 1-line block ×3, first 2 shown]
	v_mul_f64 v[176:177], v[90:91], s[24:25]
	v_mul_f64 v[178:179], v[86:87], s[22:23]
	v_fma_f64 v[72:73], v[76:77], s[30:31], v[154:155]
	v_fma_f64 v[241:242], v[76:77], s[38:39], v[62:63]
	;; [unrolled: 1-line block ×3, first 2 shown]
	v_add_f64 v[54:55], v[64:65], v[54:55]
	v_add_f64 v[32:33], v[32:33], v[98:99]
	;; [unrolled: 1-line block ×4, first 2 shown]
	v_mul_f64 v[180:181], v[90:91], s[2:3]
	v_mul_f64 v[182:183], v[86:87], s[16:17]
	v_fma_f64 v[62:63], v[76:77], s[38:39], -v[62:63]
	v_fma_f64 v[245:246], v[76:77], s[10:11], v[160:161]
	v_fma_f64 v[247:248], v[80:81], s[8:9], v[162:163]
	v_add_f64 v[52:53], v[136:137], v[52:53]
	v_add_f64 v[100:101], v[140:141], v[100:101]
	;; [unrolled: 1-line block ×4, first 2 shown]
	v_fma_f64 v[74:75], v[80:81], s[34:35], v[156:157]
	v_fma_f64 v[154:155], v[76:77], s[30:31], -v[154:155]
	v_fma_f64 v[156:157], v[80:81], s[28:29], v[156:157]
	v_fma_f64 v[158:159], v[80:81], s[40:41], v[158:159]
	v_fma_f64 v[160:161], v[76:77], s[10:11], -v[160:161]
	v_fma_f64 v[162:163], v[80:81], s[0:1], v[162:163]
	v_fma_f64 v[249:250], v[76:77], s[22:23], v[164:165]
	v_add_f64 v[26:27], v[28:29], v[26:27]
	v_add_f64 v[24:25], v[30:31], v[24:25]
	v_fma_f64 v[36:37], v[80:81], s[24:25], v[166:167]
	v_fma_f64 v[164:165], v[76:77], s[22:23], -v[164:165]
	v_fma_f64 v[166:167], v[80:81], s[20:21], v[166:167]
	v_fma_f64 v[38:39], v[76:77], s[44:45], v[168:169]
	;; [unrolled: 1-line block ×3, first 2 shown]
	v_fma_f64 v[46:47], v[76:77], s[44:45], -v[168:169]
	v_fma_f64 v[168:169], v[80:81], s[36:37], v[170:171]
	v_fma_f64 v[170:171], v[76:77], s[16:17], v[82:83]
	v_fma_f64 v[76:77], v[76:77], s[16:17], -v[82:83]
	v_fma_f64 v[82:83], v[80:81], s[2:3], v[78:79]
	v_fma_f64 v[78:79], v[80:81], s[18:19], v[78:79]
	v_mul_f64 v[80:81], v[90:91], s[36:37]
	v_mul_f64 v[184:185], v[86:87], s[44:45]
	v_add_f64 v[102:103], v[142:143], v[102:103]
	v_add_f64 v[104:105], v[144:145], v[104:105]
	;; [unrolled: 1-line block ×5, first 2 shown]
	v_mul_f64 v[116:117], v[90:91], s[0:1]
	v_mul_f64 v[118:119], v[86:87], s[10:11]
	v_add_f64 v[40:41], v[150:151], v[40:41]
	v_add_f64 v[110:111], v[233:234], v[110:111]
	;; [unrolled: 1-line block ×3, first 2 shown]
	v_mul_f64 v[172:173], v[90:91], s[26:27]
	v_mul_f64 v[174:175], v[86:87], s[38:39]
	;; [unrolled: 1-line block ×4, first 2 shown]
	v_add_f64 v[112:113], v[152:153], v[112:113]
	v_add_f64 v[42:43], v[237:238], v[42:43]
	;; [unrolled: 1-line block ×8, first 2 shown]
	v_mul_f64 v[28:29], v[96:97], s[0:1]
	v_add_f64 v[22:23], v[26:27], v[22:23]
	v_add_f64 v[20:21], v[24:25], v[20:21]
	v_mul_f64 v[120:121], v[58:59], s[10:11]
	v_fma_f64 v[128:129], v[84:85], s[22:23], v[176:177]
	v_fma_f64 v[130:131], v[88:89], s[20:21], v[178:179]
	v_add_f64 v[54:55], v[72:73], v[54:55]
	v_add_f64 v[64:65], v[241:242], v[64:65]
	;; [unrolled: 1-line block ×3, first 2 shown]
	v_mul_f64 v[30:31], v[96:97], s[26:27]
	v_mul_f64 v[122:123], v[58:59], s[38:39]
	v_fma_f64 v[217:218], v[84:85], s[16:17], v[180:181]
	v_fma_f64 v[26:27], v[88:89], s[18:19], v[182:183]
	v_add_f64 v[62:63], v[62:63], v[100:101]
	v_add_f64 v[34:35], v[245:246], v[34:35]
	;; [unrolled: 1-line block ×3, first 2 shown]
	v_mul_f64 v[209:210], v[96:97], s[18:19]
	v_mul_f64 v[211:212], v[58:59], s[16:17]
	v_fma_f64 v[176:177], v[84:85], s[22:23], -v[176:177]
	v_fma_f64 v[50:51], v[84:85], s[16:17], -v[180:181]
	v_fma_f64 v[114:115], v[84:85], s[44:45], v[80:81]
	v_fma_f64 v[134:135], v[88:89], s[42:43], v[184:185]
	v_add_f64 v[98:99], v[158:159], v[102:103]
	v_add_f64 v[102:103], v[160:161], v[104:105]
	;; [unrolled: 1-line block ×5, first 2 shown]
	v_mul_f64 v[124:125], v[96:97], s[28:29]
	v_mul_f64 v[126:127], v[58:59], s[30:31]
	v_fma_f64 v[24:25], v[88:89], s[2:3], v[182:183]
	v_fma_f64 v[180:181], v[88:89], s[36:37], v[184:185]
	v_fma_f64 v[182:183], v[84:85], s[10:11], v[116:117]
	v_fma_f64 v[184:185], v[88:89], s[8:9], v[118:119]
	v_add_f64 v[40:41], v[166:167], v[40:41]
	v_add_f64 v[38:39], v[38:39], v[110:111]
	;; [unrolled: 1-line block ×3, first 2 shown]
	v_mul_f64 v[205:206], v[96:97], s[42:43]
	v_mul_f64 v[207:208], v[58:59], s[44:45]
	v_mul_f64 v[96:97], v[96:97], s[24:25]
	v_add_f64 v[18:19], v[22:23], v[18:19]
	v_add_f64 v[16:17], v[20:21], v[16:17]
	v_mul_f64 v[58:59], v[58:59], s[22:23]
	v_fma_f64 v[116:117], v[84:85], s[10:11], -v[116:117]
	v_fma_f64 v[186:187], v[84:85], s[30:31], v[90:91]
	v_fma_f64 v[22:23], v[88:89], s[34:35], v[86:87]
	v_add_f64 v[46:47], v[46:47], v[112:113]
	v_add_f64 v[42:43], v[170:171], v[42:43]
	;; [unrolled: 1-line block ×3, first 2 shown]
	v_fma_f64 v[60:61], v[84:85], s[30:31], -v[90:91]
	v_fma_f64 v[20:21], v[88:89], s[28:29], v[86:87]
	v_add_f64 v[0:1], v[76:77], v[0:1]
	v_add_f64 v[2:3], v[78:79], v[2:3]
	v_fma_f64 v[118:119], v[88:89], s[0:1], v[118:119]
	v_add_f64 v[48:49], v[168:169], v[48:49]
	v_fma_f64 v[215:216], v[88:89], s[40:41], v[174:175]
	v_fma_f64 v[174:175], v[88:89], s[26:27], v[174:175]
	v_fma_f64 v[80:81], v[84:85], s[44:45], -v[80:81]
	v_add_f64 v[32:33], v[156:157], v[32:33]
	v_add_f64 v[108:109], v[164:165], v[108:109]
	v_fma_f64 v[178:179], v[88:89], s[24:25], v[178:179]
	v_fma_f64 v[213:214], v[84:85], s[38:39], v[172:173]
	v_fma_f64 v[172:173], v[84:85], s[38:39], -v[172:173]
	v_add_f64 v[52:53], v[154:155], v[52:53]
	v_fma_f64 v[84:85], v[92:93], s[10:11], v[28:29]
	v_fma_f64 v[86:87], v[94:95], s[8:9], v[120:121]
	v_add_f64 v[64:65], v[128:129], v[64:65]
	v_add_f64 v[72:73], v[130:131], v[72:73]
	v_fma_f64 v[88:89], v[92:93], s[38:39], v[30:31]
	v_fma_f64 v[90:91], v[94:95], s[40:41], v[122:123]
	v_add_f64 v[34:35], v[217:218], v[34:35]
	v_add_f64 v[26:27], v[26:27], v[100:101]
	v_fma_f64 v[28:29], v[92:93], s[10:11], -v[28:29]
	v_fma_f64 v[30:31], v[92:93], s[38:39], -v[30:31]
	v_fma_f64 v[76:77], v[94:95], s[2:3], v[211:212]
	v_add_f64 v[62:63], v[176:177], v[62:63]
	v_add_f64 v[50:51], v[50:51], v[102:103]
	v_add_f64 v[100:101], v[114:115], v[106:107]
	v_add_f64 v[14:15], v[18:19], v[14:15]
	v_add_f64 v[12:13], v[16:17], v[12:13]
	v_add_f64 v[16:17], v[74:75], v[56:57]
	v_fma_f64 v[18:19], v[92:93], s[16:17], v[209:210]
	v_add_f64 v[36:37], v[134:135], v[36:37]
	v_fma_f64 v[74:75], v[92:93], s[30:31], v[124:125]
	v_fma_f64 v[110:111], v[94:95], s[34:35], v[126:127]
	v_add_f64 v[102:103], v[180:181], v[40:41]
	v_add_f64 v[38:39], v[182:183], v[38:39]
	;; [unrolled: 1-line block ×3, first 2 shown]
	v_fma_f64 v[112:113], v[92:93], s[30:31], -v[124:125]
	v_fma_f64 v[124:125], v[94:95], s[28:29], v[126:127]
	v_fma_f64 v[126:127], v[92:93], s[22:23], v[96:97]
	v_fma_f64 v[132:133], v[94:95], s[20:21], v[58:59]
	v_add_f64 v[44:45], v[116:117], v[46:47]
	v_add_f64 v[42:43], v[186:187], v[42:43]
	;; [unrolled: 1-line block ×3, first 2 shown]
	v_fma_f64 v[66:67], v[92:93], s[44:45], v[205:206]
	v_fma_f64 v[68:69], v[92:93], s[44:45], -v[205:206]
	v_fma_f64 v[78:79], v[92:93], s[16:17], -v[209:210]
	;; [unrolled: 1-line block ×3, first 2 shown]
	v_fma_f64 v[58:59], v[94:95], s[24:25], v[58:59]
	v_add_f64 v[60:61], v[60:61], v[0:1]
	v_add_f64 v[2:3], v[20:21], v[2:3]
	;; [unrolled: 1-line block ×3, first 2 shown]
	v_fma_f64 v[70:71], v[94:95], s[42:43], v[207:208]
	v_fma_f64 v[56:57], v[94:95], s[18:19], v[211:212]
	v_add_f64 v[32:33], v[174:175], v[32:33]
	v_add_f64 v[80:81], v[80:81], v[108:109]
	;; [unrolled: 1-line block ×4, first 2 shown]
	v_fma_f64 v[106:107], v[94:95], s[26:27], v[122:123]
	v_fma_f64 v[108:109], v[94:95], s[0:1], v[120:121]
	v_add_f64 v[52:53], v[172:173], v[52:53]
	v_add_f64 v[54:55], v[213:214], v[54:55]
	v_fma_f64 v[94:95], v[94:95], s[36:37], v[207:208]
	v_add_f64 v[20:21], v[88:89], v[34:35]
	v_add_f64 v[22:23], v[90:91], v[26:27]
	;; [unrolled: 1-line block ×29, first 2 shown]
	ds_store_b128 v200, v[12:15] offset:3264
	ds_store_b128 v200, v[20:23] offset:4896
	;; [unrolled: 1-line block ×11, first 2 shown]
	ds_store_b128 v200, v[52:55]
	ds_store_b128 v200, v[0:3] offset:1632
	s_waitcnt lgkmcnt(0)
	s_barrier
	buffer_gl0_inv
	s_and_b32 exec_lo, exec_lo, vcc_lo
	s_cbranch_execz .LBB0_23
; %bb.22:
	scratch_load_b32 v17, off, off          ; 4-byte Folded Reload
	s_mov_b32 s0, 0x18b64019
	s_mov_b32 s1, 0x3f48b640
	s_mul_i32 s2, s5, 0x4e0
	s_mul_i32 s3, s4, 0x4e0
	s_waitcnt vmcnt(0)
	v_lshlrev_b32_e32 v16, 4, v17
	global_load_b128 v[0:3], v16, s[12:13]
	ds_load_b128 v[4:7], v200
	ds_load_b128 v[8:11], v200 offset:1248
	s_waitcnt vmcnt(0) lgkmcnt(1)
	v_mul_f64 v[12:13], v[6:7], v[2:3]
	v_mul_f64 v[2:3], v[4:5], v[2:3]
	s_delay_alu instid0(VALU_DEP_2) | instskip(NEXT) | instid1(VALU_DEP_2)
	v_fma_f64 v[4:5], v[4:5], v[0:1], v[12:13]
	v_fma_f64 v[2:3], v[0:1], v[6:7], -v[2:3]
	scratch_load_b64 v[0:1], off, off offset:4 ; 8-byte Folded Reload
	v_mad_u64_u32 v[12:13], null, s4, v17, 0
	v_mul_f64 v[2:3], v[2:3], s[0:1]
	s_waitcnt vmcnt(0)
	v_mov_b32_e32 v15, v0
	v_mul_f64 v[0:1], v[4:5], s[0:1]
	s_delay_alu instid0(VALU_DEP_4) | instskip(NEXT) | instid1(VALU_DEP_3)
	v_mov_b32_e32 v5, v13
	v_mad_u64_u32 v[6:7], null, s6, v15, 0
	s_delay_alu instid0(VALU_DEP_1) | instskip(NEXT) | instid1(VALU_DEP_1)
	v_mov_b32_e32 v4, v7
	v_mad_u64_u32 v[13:14], null, s7, v15, v[4:5]
	s_delay_alu instid0(VALU_DEP_3) | instskip(SKIP_3) | instid1(VALU_DEP_3)
	v_mad_u64_u32 v[14:15], null, s5, v17, v[5:6]
	s_mul_hi_u32 s5, s4, 0x4e0
	v_add_co_u32 v18, s4, s12, v16
	s_add_i32 s2, s5, s2
	v_mov_b32_e32 v7, v13
	v_add_co_ci_u32_e64 v19, null, s13, 0, s4
	s_delay_alu instid0(VALU_DEP_4) | instskip(NEXT) | instid1(VALU_DEP_3)
	v_mov_b32_e32 v13, v14
	v_lshlrev_b64 v[4:5], 4, v[6:7]
	s_delay_alu instid0(VALU_DEP_2) | instskip(NEXT) | instid1(VALU_DEP_2)
	v_lshlrev_b64 v[6:7], 4, v[12:13]
	v_add_co_u32 v4, vcc_lo, s14, v4
	s_delay_alu instid0(VALU_DEP_3) | instskip(NEXT) | instid1(VALU_DEP_2)
	v_add_co_ci_u32_e32 v5, vcc_lo, s15, v5, vcc_lo
	v_add_co_u32 v4, vcc_lo, v4, v6
	s_delay_alu instid0(VALU_DEP_2) | instskip(NEXT) | instid1(VALU_DEP_2)
	v_add_co_ci_u32_e32 v5, vcc_lo, v5, v7, vcc_lo
	v_add_co_u32 v12, vcc_lo, v4, s3
	global_store_b128 v[4:5], v[0:3], off
	global_load_b128 v[0:3], v16, s[12:13] offset:1248
	v_add_co_ci_u32_e32 v13, vcc_lo, s2, v5, vcc_lo
	s_waitcnt vmcnt(0) lgkmcnt(0)
	v_mul_f64 v[6:7], v[10:11], v[2:3]
	v_mul_f64 v[2:3], v[8:9], v[2:3]
	s_delay_alu instid0(VALU_DEP_2) | instskip(NEXT) | instid1(VALU_DEP_2)
	v_fma_f64 v[6:7], v[8:9], v[0:1], v[6:7]
	v_fma_f64 v[2:3], v[0:1], v[10:11], -v[2:3]
	s_delay_alu instid0(VALU_DEP_2) | instskip(NEXT) | instid1(VALU_DEP_2)
	v_mul_f64 v[0:1], v[6:7], s[0:1]
	v_mul_f64 v[2:3], v[2:3], s[0:1]
	global_store_b128 v[12:13], v[0:3], off
	global_load_b128 v[0:3], v16, s[12:13] offset:2496
	ds_load_b128 v[4:7], v200 offset:2496
	ds_load_b128 v[8:11], v200 offset:3744
	s_waitcnt vmcnt(0) lgkmcnt(1)
	v_mul_f64 v[14:15], v[6:7], v[2:3]
	v_mul_f64 v[2:3], v[4:5], v[2:3]
	s_delay_alu instid0(VALU_DEP_2) | instskip(NEXT) | instid1(VALU_DEP_2)
	v_fma_f64 v[4:5], v[4:5], v[0:1], v[14:15]
	v_fma_f64 v[2:3], v[0:1], v[6:7], -v[2:3]
	s_delay_alu instid0(VALU_DEP_2) | instskip(NEXT) | instid1(VALU_DEP_2)
	v_mul_f64 v[0:1], v[4:5], s[0:1]
	v_mul_f64 v[2:3], v[2:3], s[0:1]
	v_add_co_u32 v4, vcc_lo, v12, s3
	v_add_co_ci_u32_e32 v5, vcc_lo, s2, v13, vcc_lo
	s_delay_alu instid0(VALU_DEP_2) | instskip(NEXT) | instid1(VALU_DEP_2)
	v_add_co_u32 v12, vcc_lo, v4, s3
	v_add_co_ci_u32_e32 v13, vcc_lo, s2, v5, vcc_lo
	v_add_co_u32 v14, vcc_lo, 0x1000, v18
	v_add_co_ci_u32_e32 v15, vcc_lo, 0, v19, vcc_lo
	global_store_b128 v[4:5], v[0:3], off
	global_load_b128 v[0:3], v16, s[12:13] offset:3744
	s_waitcnt vmcnt(0) lgkmcnt(0)
	v_mul_f64 v[6:7], v[10:11], v[2:3]
	v_mul_f64 v[2:3], v[8:9], v[2:3]
	s_delay_alu instid0(VALU_DEP_2) | instskip(NEXT) | instid1(VALU_DEP_2)
	v_fma_f64 v[6:7], v[8:9], v[0:1], v[6:7]
	v_fma_f64 v[2:3], v[0:1], v[10:11], -v[2:3]
	s_delay_alu instid0(VALU_DEP_2) | instskip(NEXT) | instid1(VALU_DEP_2)
	v_mul_f64 v[0:1], v[6:7], s[0:1]
	v_mul_f64 v[2:3], v[2:3], s[0:1]
	global_store_b128 v[12:13], v[0:3], off
	global_load_b128 v[0:3], v[14:15], off offset:896
	ds_load_b128 v[4:7], v200 offset:4992
	ds_load_b128 v[8:11], v200 offset:6240
	s_waitcnt vmcnt(0) lgkmcnt(1)
	v_mul_f64 v[16:17], v[6:7], v[2:3]
	v_mul_f64 v[2:3], v[4:5], v[2:3]
	s_delay_alu instid0(VALU_DEP_2) | instskip(NEXT) | instid1(VALU_DEP_2)
	v_fma_f64 v[4:5], v[4:5], v[0:1], v[16:17]
	v_fma_f64 v[2:3], v[0:1], v[6:7], -v[2:3]
	s_delay_alu instid0(VALU_DEP_2) | instskip(NEXT) | instid1(VALU_DEP_2)
	v_mul_f64 v[0:1], v[4:5], s[0:1]
	v_mul_f64 v[2:3], v[2:3], s[0:1]
	v_add_co_u32 v4, vcc_lo, v12, s3
	v_add_co_ci_u32_e32 v5, vcc_lo, s2, v13, vcc_lo
	s_delay_alu instid0(VALU_DEP_2) | instskip(NEXT) | instid1(VALU_DEP_2)
	v_add_co_u32 v12, vcc_lo, v4, s3
	v_add_co_ci_u32_e32 v13, vcc_lo, s2, v5, vcc_lo
	global_store_b128 v[4:5], v[0:3], off
	global_load_b128 v[0:3], v[14:15], off offset:2144
	s_waitcnt vmcnt(0) lgkmcnt(0)
	v_mul_f64 v[6:7], v[10:11], v[2:3]
	v_mul_f64 v[2:3], v[8:9], v[2:3]
	s_delay_alu instid0(VALU_DEP_2) | instskip(NEXT) | instid1(VALU_DEP_2)
	v_fma_f64 v[6:7], v[8:9], v[0:1], v[6:7]
	v_fma_f64 v[2:3], v[0:1], v[10:11], -v[2:3]
	s_delay_alu instid0(VALU_DEP_2) | instskip(NEXT) | instid1(VALU_DEP_2)
	v_mul_f64 v[0:1], v[6:7], s[0:1]
	v_mul_f64 v[2:3], v[2:3], s[0:1]
	global_store_b128 v[12:13], v[0:3], off
	global_load_b128 v[0:3], v[14:15], off offset:3392
	ds_load_b128 v[4:7], v200 offset:7488
	ds_load_b128 v[8:11], v200 offset:8736
	s_waitcnt vmcnt(0) lgkmcnt(1)
	v_mul_f64 v[14:15], v[6:7], v[2:3]
	v_mul_f64 v[2:3], v[4:5], v[2:3]
	s_delay_alu instid0(VALU_DEP_2) | instskip(NEXT) | instid1(VALU_DEP_2)
	v_fma_f64 v[4:5], v[4:5], v[0:1], v[14:15]
	v_fma_f64 v[2:3], v[0:1], v[6:7], -v[2:3]
	s_delay_alu instid0(VALU_DEP_2) | instskip(NEXT) | instid1(VALU_DEP_2)
	v_mul_f64 v[0:1], v[4:5], s[0:1]
	v_mul_f64 v[2:3], v[2:3], s[0:1]
	v_add_co_u32 v4, vcc_lo, v12, s3
	v_add_co_ci_u32_e32 v5, vcc_lo, s2, v13, vcc_lo
	v_add_co_u32 v12, vcc_lo, 0x2000, v18
	v_add_co_ci_u32_e32 v13, vcc_lo, 0, v19, vcc_lo
	s_delay_alu instid0(VALU_DEP_4) | instskip(NEXT) | instid1(VALU_DEP_4)
	v_add_co_u32 v14, vcc_lo, v4, s3
	v_add_co_ci_u32_e32 v15, vcc_lo, s2, v5, vcc_lo
	global_store_b128 v[4:5], v[0:3], off
	global_load_b128 v[0:3], v[12:13], off offset:544
	s_waitcnt vmcnt(0) lgkmcnt(0)
	v_mul_f64 v[6:7], v[10:11], v[2:3]
	v_mul_f64 v[2:3], v[8:9], v[2:3]
	s_delay_alu instid0(VALU_DEP_2) | instskip(NEXT) | instid1(VALU_DEP_2)
	v_fma_f64 v[6:7], v[8:9], v[0:1], v[6:7]
	v_fma_f64 v[2:3], v[0:1], v[10:11], -v[2:3]
	s_delay_alu instid0(VALU_DEP_2) | instskip(NEXT) | instid1(VALU_DEP_2)
	v_mul_f64 v[0:1], v[6:7], s[0:1]
	v_mul_f64 v[2:3], v[2:3], s[0:1]
	global_store_b128 v[14:15], v[0:3], off
	global_load_b128 v[0:3], v[12:13], off offset:1792
	ds_load_b128 v[4:7], v200 offset:9984
	ds_load_b128 v[8:11], v200 offset:11232
	s_waitcnt vmcnt(0) lgkmcnt(1)
	v_mul_f64 v[16:17], v[6:7], v[2:3]
	v_mul_f64 v[2:3], v[4:5], v[2:3]
	s_delay_alu instid0(VALU_DEP_2) | instskip(NEXT) | instid1(VALU_DEP_2)
	v_fma_f64 v[4:5], v[4:5], v[0:1], v[16:17]
	v_fma_f64 v[2:3], v[0:1], v[6:7], -v[2:3]
	s_delay_alu instid0(VALU_DEP_2) | instskip(NEXT) | instid1(VALU_DEP_2)
	v_mul_f64 v[0:1], v[4:5], s[0:1]
	v_mul_f64 v[2:3], v[2:3], s[0:1]
	v_add_co_u32 v4, vcc_lo, v14, s3
	v_add_co_ci_u32_e32 v5, vcc_lo, s2, v15, vcc_lo
	global_store_b128 v[4:5], v[0:3], off
	global_load_b128 v[0:3], v[12:13], off offset:3040
	v_add_co_u32 v12, vcc_lo, v4, s3
	v_add_co_ci_u32_e32 v13, vcc_lo, s2, v5, vcc_lo
	v_add_co_u32 v14, vcc_lo, 0x3000, v18
	v_add_co_ci_u32_e32 v15, vcc_lo, 0, v19, vcc_lo
	s_waitcnt vmcnt(0) lgkmcnt(0)
	v_mul_f64 v[6:7], v[10:11], v[2:3]
	v_mul_f64 v[2:3], v[8:9], v[2:3]
	s_delay_alu instid0(VALU_DEP_2) | instskip(NEXT) | instid1(VALU_DEP_2)
	v_fma_f64 v[6:7], v[8:9], v[0:1], v[6:7]
	v_fma_f64 v[2:3], v[0:1], v[10:11], -v[2:3]
	s_delay_alu instid0(VALU_DEP_2) | instskip(NEXT) | instid1(VALU_DEP_2)
	v_mul_f64 v[0:1], v[6:7], s[0:1]
	v_mul_f64 v[2:3], v[2:3], s[0:1]
	global_store_b128 v[12:13], v[0:3], off
	global_load_b128 v[0:3], v[14:15], off offset:192
	ds_load_b128 v[4:7], v200 offset:12480
	ds_load_b128 v[8:11], v200 offset:13728
	s_waitcnt vmcnt(0) lgkmcnt(1)
	v_mul_f64 v[16:17], v[6:7], v[2:3]
	v_mul_f64 v[2:3], v[4:5], v[2:3]
	s_delay_alu instid0(VALU_DEP_2) | instskip(NEXT) | instid1(VALU_DEP_2)
	v_fma_f64 v[4:5], v[4:5], v[0:1], v[16:17]
	v_fma_f64 v[2:3], v[0:1], v[6:7], -v[2:3]
	s_delay_alu instid0(VALU_DEP_2) | instskip(NEXT) | instid1(VALU_DEP_2)
	v_mul_f64 v[0:1], v[4:5], s[0:1]
	v_mul_f64 v[2:3], v[2:3], s[0:1]
	v_add_co_u32 v4, vcc_lo, v12, s3
	v_add_co_ci_u32_e32 v5, vcc_lo, s2, v13, vcc_lo
	s_delay_alu instid0(VALU_DEP_2) | instskip(NEXT) | instid1(VALU_DEP_2)
	v_add_co_u32 v12, vcc_lo, v4, s3
	v_add_co_ci_u32_e32 v13, vcc_lo, s2, v5, vcc_lo
	global_store_b128 v[4:5], v[0:3], off
	global_load_b128 v[0:3], v[14:15], off offset:1440
	s_waitcnt vmcnt(0) lgkmcnt(0)
	v_mul_f64 v[6:7], v[10:11], v[2:3]
	v_mul_f64 v[2:3], v[8:9], v[2:3]
	s_delay_alu instid0(VALU_DEP_2) | instskip(NEXT) | instid1(VALU_DEP_2)
	v_fma_f64 v[6:7], v[8:9], v[0:1], v[6:7]
	v_fma_f64 v[2:3], v[0:1], v[10:11], -v[2:3]
	s_delay_alu instid0(VALU_DEP_2) | instskip(NEXT) | instid1(VALU_DEP_2)
	v_mul_f64 v[0:1], v[6:7], s[0:1]
	v_mul_f64 v[2:3], v[2:3], s[0:1]
	global_store_b128 v[12:13], v[0:3], off
	global_load_b128 v[0:3], v[14:15], off offset:2688
	ds_load_b128 v[4:7], v200 offset:14976
	ds_load_b128 v[8:11], v200 offset:16224
	s_waitcnt vmcnt(0) lgkmcnt(1)
	v_mul_f64 v[16:17], v[6:7], v[2:3]
	v_mul_f64 v[2:3], v[4:5], v[2:3]
	s_delay_alu instid0(VALU_DEP_2) | instskip(NEXT) | instid1(VALU_DEP_2)
	v_fma_f64 v[4:5], v[4:5], v[0:1], v[16:17]
	v_fma_f64 v[2:3], v[0:1], v[6:7], -v[2:3]
	s_delay_alu instid0(VALU_DEP_2) | instskip(NEXT) | instid1(VALU_DEP_2)
	v_mul_f64 v[0:1], v[4:5], s[0:1]
	v_mul_f64 v[2:3], v[2:3], s[0:1]
	v_add_co_u32 v4, vcc_lo, v12, s3
	v_add_co_ci_u32_e32 v5, vcc_lo, s2, v13, vcc_lo
	s_delay_alu instid0(VALU_DEP_2) | instskip(NEXT) | instid1(VALU_DEP_2)
	v_add_co_u32 v12, vcc_lo, v4, s3
	v_add_co_ci_u32_e32 v13, vcc_lo, s2, v5, vcc_lo
	global_store_b128 v[4:5], v[0:3], off
	global_load_b128 v[0:3], v[14:15], off offset:3936
	v_add_co_u32 v14, vcc_lo, 0x4000, v18
	v_add_co_ci_u32_e32 v15, vcc_lo, 0, v19, vcc_lo
	s_waitcnt vmcnt(0) lgkmcnt(0)
	v_mul_f64 v[6:7], v[10:11], v[2:3]
	v_mul_f64 v[2:3], v[8:9], v[2:3]
	s_delay_alu instid0(VALU_DEP_2) | instskip(NEXT) | instid1(VALU_DEP_2)
	v_fma_f64 v[6:7], v[8:9], v[0:1], v[6:7]
	v_fma_f64 v[2:3], v[0:1], v[10:11], -v[2:3]
	s_delay_alu instid0(VALU_DEP_2) | instskip(NEXT) | instid1(VALU_DEP_2)
	v_mul_f64 v[0:1], v[6:7], s[0:1]
	v_mul_f64 v[2:3], v[2:3], s[0:1]
	global_store_b128 v[12:13], v[0:3], off
	global_load_b128 v[0:3], v[14:15], off offset:1088
	ds_load_b128 v[4:7], v200 offset:17472
	ds_load_b128 v[8:11], v200 offset:18720
	s_waitcnt vmcnt(0) lgkmcnt(1)
	v_mul_f64 v[16:17], v[6:7], v[2:3]
	v_mul_f64 v[2:3], v[4:5], v[2:3]
	s_delay_alu instid0(VALU_DEP_2) | instskip(NEXT) | instid1(VALU_DEP_2)
	v_fma_f64 v[4:5], v[4:5], v[0:1], v[16:17]
	v_fma_f64 v[2:3], v[0:1], v[6:7], -v[2:3]
	s_delay_alu instid0(VALU_DEP_2) | instskip(NEXT) | instid1(VALU_DEP_2)
	v_mul_f64 v[0:1], v[4:5], s[0:1]
	v_mul_f64 v[2:3], v[2:3], s[0:1]
	v_add_co_u32 v4, vcc_lo, v12, s3
	v_add_co_ci_u32_e32 v5, vcc_lo, s2, v13, vcc_lo
	global_store_b128 v[4:5], v[0:3], off
	global_load_b128 v[0:3], v[14:15], off offset:2336
	s_waitcnt vmcnt(0) lgkmcnt(0)
	v_mul_f64 v[6:7], v[10:11], v[2:3]
	v_mul_f64 v[2:3], v[8:9], v[2:3]
	s_delay_alu instid0(VALU_DEP_2) | instskip(NEXT) | instid1(VALU_DEP_2)
	v_fma_f64 v[6:7], v[8:9], v[0:1], v[6:7]
	v_fma_f64 v[2:3], v[0:1], v[10:11], -v[2:3]
	v_add_co_u32 v8, vcc_lo, v4, s3
	v_add_co_ci_u32_e32 v9, vcc_lo, s2, v5, vcc_lo
	s_delay_alu instid0(VALU_DEP_4) | instskip(NEXT) | instid1(VALU_DEP_4)
	v_mul_f64 v[0:1], v[6:7], s[0:1]
	v_mul_f64 v[2:3], v[2:3], s[0:1]
	ds_load_b128 v[4:7], v200 offset:19968
	global_store_b128 v[8:9], v[0:3], off
	global_load_b128 v[0:3], v[14:15], off offset:3584
	s_waitcnt vmcnt(0) lgkmcnt(0)
	v_mul_f64 v[10:11], v[6:7], v[2:3]
	v_mul_f64 v[2:3], v[4:5], v[2:3]
	s_delay_alu instid0(VALU_DEP_2) | instskip(NEXT) | instid1(VALU_DEP_2)
	v_fma_f64 v[4:5], v[4:5], v[0:1], v[10:11]
	v_fma_f64 v[2:3], v[0:1], v[6:7], -v[2:3]
	s_delay_alu instid0(VALU_DEP_2) | instskip(NEXT) | instid1(VALU_DEP_2)
	v_mul_f64 v[0:1], v[4:5], s[0:1]
	v_mul_f64 v[2:3], v[2:3], s[0:1]
	v_add_co_u32 v4, vcc_lo, v8, s3
	v_add_co_ci_u32_e32 v5, vcc_lo, s2, v9, vcc_lo
	global_store_b128 v[4:5], v[0:3], off
.LBB0_23:
	s_endpgm
	.section	.rodata,"a",@progbits
	.p2align	6, 0x0
	.amdhsa_kernel bluestein_single_back_len1326_dim1_dp_op_CI_CI
		.amdhsa_group_segment_fixed_size 42432
		.amdhsa_private_segment_fixed_size 740
		.amdhsa_kernarg_size 104
		.amdhsa_user_sgpr_count 15
		.amdhsa_user_sgpr_dispatch_ptr 0
		.amdhsa_user_sgpr_queue_ptr 0
		.amdhsa_user_sgpr_kernarg_segment_ptr 1
		.amdhsa_user_sgpr_dispatch_id 0
		.amdhsa_user_sgpr_private_segment_size 0
		.amdhsa_wavefront_size32 1
		.amdhsa_uses_dynamic_stack 0
		.amdhsa_enable_private_segment 1
		.amdhsa_system_sgpr_workgroup_id_x 1
		.amdhsa_system_sgpr_workgroup_id_y 0
		.amdhsa_system_sgpr_workgroup_id_z 0
		.amdhsa_system_sgpr_workgroup_info 0
		.amdhsa_system_vgpr_workitem_id 0
		.amdhsa_next_free_vgpr 256
		.amdhsa_next_free_sgpr 60
		.amdhsa_reserve_vcc 1
		.amdhsa_float_round_mode_32 0
		.amdhsa_float_round_mode_16_64 0
		.amdhsa_float_denorm_mode_32 3
		.amdhsa_float_denorm_mode_16_64 3
		.amdhsa_dx10_clamp 1
		.amdhsa_ieee_mode 1
		.amdhsa_fp16_overflow 0
		.amdhsa_workgroup_processor_mode 1
		.amdhsa_memory_ordered 1
		.amdhsa_forward_progress 0
		.amdhsa_shared_vgpr_count 0
		.amdhsa_exception_fp_ieee_invalid_op 0
		.amdhsa_exception_fp_denorm_src 0
		.amdhsa_exception_fp_ieee_div_zero 0
		.amdhsa_exception_fp_ieee_overflow 0
		.amdhsa_exception_fp_ieee_underflow 0
		.amdhsa_exception_fp_ieee_inexact 0
		.amdhsa_exception_int_div_zero 0
	.end_amdhsa_kernel
	.text
.Lfunc_end0:
	.size	bluestein_single_back_len1326_dim1_dp_op_CI_CI, .Lfunc_end0-bluestein_single_back_len1326_dim1_dp_op_CI_CI
                                        ; -- End function
	.section	.AMDGPU.csdata,"",@progbits
; Kernel info:
; codeLenInByte = 36028
; NumSgprs: 62
; NumVgprs: 256
; ScratchSize: 740
; MemoryBound: 0
; FloatMode: 240
; IeeeMode: 1
; LDSByteSize: 42432 bytes/workgroup (compile time only)
; SGPRBlocks: 7
; VGPRBlocks: 31
; NumSGPRsForWavesPerEU: 62
; NumVGPRsForWavesPerEU: 256
; Occupancy: 5
; WaveLimiterHint : 1
; COMPUTE_PGM_RSRC2:SCRATCH_EN: 1
; COMPUTE_PGM_RSRC2:USER_SGPR: 15
; COMPUTE_PGM_RSRC2:TRAP_HANDLER: 0
; COMPUTE_PGM_RSRC2:TGID_X_EN: 1
; COMPUTE_PGM_RSRC2:TGID_Y_EN: 0
; COMPUTE_PGM_RSRC2:TGID_Z_EN: 0
; COMPUTE_PGM_RSRC2:TIDIG_COMP_CNT: 0
	.text
	.p2alignl 7, 3214868480
	.fill 96, 4, 3214868480
	.type	__hip_cuid_d932475c465046c1,@object ; @__hip_cuid_d932475c465046c1
	.section	.bss,"aw",@nobits
	.globl	__hip_cuid_d932475c465046c1
__hip_cuid_d932475c465046c1:
	.byte	0                               ; 0x0
	.size	__hip_cuid_d932475c465046c1, 1

	.ident	"AMD clang version 19.0.0git (https://github.com/RadeonOpenCompute/llvm-project roc-6.4.0 25133 c7fe45cf4b819c5991fe208aaa96edf142730f1d)"
	.section	".note.GNU-stack","",@progbits
	.addrsig
	.addrsig_sym __hip_cuid_d932475c465046c1
	.amdgpu_metadata
---
amdhsa.kernels:
  - .args:
      - .actual_access:  read_only
        .address_space:  global
        .offset:         0
        .size:           8
        .value_kind:     global_buffer
      - .actual_access:  read_only
        .address_space:  global
        .offset:         8
        .size:           8
        .value_kind:     global_buffer
      - .actual_access:  read_only
        .address_space:  global
        .offset:         16
        .size:           8
        .value_kind:     global_buffer
      - .actual_access:  read_only
        .address_space:  global
        .offset:         24
        .size:           8
        .value_kind:     global_buffer
      - .actual_access:  read_only
        .address_space:  global
        .offset:         32
        .size:           8
        .value_kind:     global_buffer
      - .offset:         40
        .size:           8
        .value_kind:     by_value
      - .address_space:  global
        .offset:         48
        .size:           8
        .value_kind:     global_buffer
      - .address_space:  global
        .offset:         56
        .size:           8
        .value_kind:     global_buffer
      - .address_space:  global
        .offset:         64
        .size:           8
        .value_kind:     global_buffer
      - .address_space:  global
        .offset:         72
        .size:           8
        .value_kind:     global_buffer
      - .offset:         80
        .size:           4
        .value_kind:     by_value
      - .address_space:  global
        .offset:         88
        .size:           8
        .value_kind:     global_buffer
      - .address_space:  global
        .offset:         96
        .size:           8
        .value_kind:     global_buffer
    .group_segment_fixed_size: 42432
    .kernarg_segment_align: 8
    .kernarg_segment_size: 104
    .language:       OpenCL C
    .language_version:
      - 2
      - 0
    .max_flat_workgroup_size: 204
    .name:           bluestein_single_back_len1326_dim1_dp_op_CI_CI
    .private_segment_fixed_size: 740
    .sgpr_count:     62
    .sgpr_spill_count: 0
    .symbol:         bluestein_single_back_len1326_dim1_dp_op_CI_CI.kd
    .uniform_work_group_size: 1
    .uses_dynamic_stack: false
    .vgpr_count:     256
    .vgpr_spill_count: 261
    .wavefront_size: 32
    .workgroup_processor_mode: 1
amdhsa.target:   amdgcn-amd-amdhsa--gfx1100
amdhsa.version:
  - 1
  - 2
...

	.end_amdgpu_metadata
